;; amdgpu-corpus repo=zjin-lcf/HeCBench kind=compiled arch=gfx906 opt=O3
	.amdgcn_target "amdgcn-amd-amdhsa--gfx906"
	.amdhsa_code_object_version 6
	.section	.text._ZL11MPCcompressILi64EEviPlS0_PVih,"axG",@progbits,_ZL11MPCcompressILi64EEviPlS0_PVih,comdat
	.globl	_ZL11MPCcompressILi64EEviPlS0_PVih ; -- Begin function _ZL11MPCcompressILi64EEviPlS0_PVih
	.p2align	8
	.type	_ZL11MPCcompressILi64EEviPlS0_PVih,@function
_ZL11MPCcompressILi64EEviPlS0_PVih:     ; @_ZL11MPCcompressILi64EEviPlS0_PVih
; %bb.0:
	s_load_dword s33, s[4:5], 0x0
	s_movk_i32 s7, 0x3ff
	s_waitcnt lgkmcnt(0)
	s_add_i32 s0, s33, 0x3ff
	s_ashr_i32 s1, s0, 31
	s_lshr_b32 s1, s1, 22
	s_add_i32 s0, s0, s1
	s_ashr_i32 s42, s0, 10
	s_cmp_ge_i32 s6, s42
	s_cbranch_scc1 .LBB0_31
; %bb.1:
	s_add_i32 s1, s33, 63
	s_load_dwordx4 s[36:39], s[4:5], 0x8
	s_load_dwordx2 s[24:25], s[4:5], 0x18
	s_load_dword s0, s[4:5], 0x20
	s_load_dword s43, s[4:5], 0x28
	s_ashr_i32 s2, s1, 31
	s_lshr_b32 s2, s2, 26
	s_add_i32 s1, s1, s2
	s_ashr_i32 s44, s1, 6
	s_add_i32 s44, s44, 1
	s_add_i32 s45, s42, -1
	s_add_i32 s1, s6, 1
	s_waitcnt lgkmcnt(0)
	s_cmp_lg_u32 s1, s43
	s_cselect_b32 s26, s1, 0
	s_and_b32 s40, s0, 0xff
	v_subrev_co_u32_e32 v1, vcc, s40, v0
	v_lshlrev_b32_e32 v7, 3, v1
	v_mbcnt_lo_u32_b32 v1, -1, 0
	v_mbcnt_hi_u32_b32 v1, -1, v1
	v_and_b32_e32 v2, 64, v1
	v_add_u32_e32 v3, -1, v1
	v_cmp_lt_i32_e64 s[2:3], v3, v2
	v_cndmask_b32_e64 v3, v3, v1, s[2:3]
	v_lshlrev_b32_e32 v11, 2, v3
	v_add_u32_e32 v3, -2, v1
	v_cmp_lt_i32_e64 s[4:5], v3, v2
	v_cndmask_b32_e64 v3, v3, v1, s[4:5]
	v_lshlrev_b32_e32 v12, 2, v3
	;; [unrolled: 4-line block ×4, first 2 shown]
	v_add_u32_e32 v3, -16, v1
	v_cmp_lt_i32_e64 s[12:13], v3, v2
	v_cndmask_b32_e64 v3, v3, v1, s[12:13]
	v_cmp_eq_u32_e64 s[22:23], s7, v0
	s_ashr_i32 s7, s6, 31
	v_lshlrev_b32_e32 v15, 2, v3
	v_subrev_u32_e32 v3, 32, v1
	s_lshl_b64 s[28:29], s[6:7], 2
	v_cmp_lt_i32_e64 s[14:15], v3, v2
	s_add_u32 s30, s24, s28
	v_cndmask_b32_e64 v1, v3, v1, s[14:15]
	s_addc_u32 s31, s25, s29
	s_ashr_i32 s27, s26, 31
	v_lshlrev_b32_e32 v16, 2, v1
	v_lshrrev_b32_e32 v1, 6, v0
	s_lshl_b64 s[26:27], s[26:27], 2
	v_and_b32_e32 v5, 63, v0
	v_lshlrev_b32_e32 v6, 3, v0
	v_lshlrev_b32_e32 v17, 2, v1
	s_add_u32 s34, s24, s26
	v_mov_b32_e32 v2, 0x21c0
	v_or_b32_e32 v8, 0x2000, v6
	v_mov_b32_e32 v9, 0
	v_cmp_ne_u32_e64 s[0:1], 0, v0
	v_add_u32_e32 v10, -8, v6
	v_cmp_eq_u32_e64 s[2:3], 0, v5
	v_cmp_lt_u32_e64 s[4:5], 1, v5
	v_cmp_lt_u32_e64 s[8:9], 3, v5
	v_cmp_lt_u32_e64 s[10:11], 7, v5
	v_cmp_lt_u32_e64 s[12:13], 15, v5
	v_cmp_lt_u32_e64 s[14:15], 31, v5
	v_cmp_eq_u32_e64 s[16:17], 63, v5
	v_cmp_gt_u32_e64 s[18:19], 64, v0
	v_cmp_lt_u32_e64 s[20:21], 63, v0
	v_lshlrev_b32_e32 v18, 2, v5
	v_add_u32_e32 v19, -4, v17
	s_addc_u32 s35, s25, s27
	s_add_i32 s7, s40, 0x43504cff
	v_lshl_or_b32 v20, v1, 9, v2
	v_mov_b32_e32 v21, -1
	s_branch .LBB0_3
.LBB0_2:                                ;   in Loop: Header=BB0_3 Depth=1
	s_or_b64 exec, exec, s[26:27]
	s_add_i32 s6, s6, s43
	s_cmp_ge_i32 s6, s42
	s_cbranch_scc1 .LBB0_31
.LBB0_3:                                ; =>This Loop Header: Depth=1
                                        ;     Child Loop BB0_8 Depth 2
                                        ;     Child Loop BB0_24 Depth 2
	v_lshl_or_b32 v3, s6, 10, v0
	v_mov_b32_e32 v1, 0
	v_cmp_le_i32_e64 s[26:27], s33, v3
	v_cmp_gt_i32_e64 s[24:25], s33, v3
	v_mov_b32_e32 v2, 0
	v_ashrrev_i32_e32 v4, 31, v3
	s_and_saveexec_b64 s[40:41], s[24:25]
	s_cbranch_execz .LBB0_5
; %bb.4:                                ;   in Loop: Header=BB0_3 Depth=1
	v_lshlrev_b64 v[1:2], 3, v[3:4]
	v_mov_b32_e32 v22, s37
	v_add_co_u32_e64 v1, s[28:29], s36, v1
	v_addc_co_u32_e64 v2, s[28:29], v22, v2, s[28:29]
	global_load_dwordx2 v[1:2], v[1:2], off
	s_waitcnt vmcnt(0)
	ds_write_b64 v6, v[1:2]
.LBB0_5:                                ;   in Loop: Header=BB0_3 Depth=1
	s_or_b64 exec, exec, s[40:41]
	s_nor_b64 s[26:27], vcc, s[26:27]
	s_waitcnt vmcnt(0) lgkmcnt(0)
	s_barrier
	s_and_saveexec_b64 s[28:29], s[26:27]
	s_cbranch_execz .LBB0_7
; %bb.6:                                ;   in Loop: Header=BB0_3 Depth=1
	ds_read_b64 v[22:23], v7
	s_waitcnt lgkmcnt(0)
	v_sub_co_u32_e64 v1, s[26:27], v1, v22
	v_subb_co_u32_e64 v2, s[26:27], v2, v23, s[26:27]
.LBB0_7:                                ;   in Loop: Header=BB0_3 Depth=1
	s_or_b64 exec, exec, s[28:29]
	ds_write_b64 v8, v[1:2]
	v_mov_b32_e32 v1, 0
	v_mov_b32_e32 v2, 0
	s_mov_b32 s26, 0
	s_waitcnt lgkmcnt(0)
	s_barrier
.LBB0_8:                                ;   Parent Loop BB0_3 Depth=1
                                        ; =>  This Inner Loop Header: Depth=2
	v_add_u32_e32 v26, s26, v20
	ds_read2_b64 v[22:25], v26 offset0:6 offset1:7
	v_lshlrev_b64 v[1:2], 2, v[1:2]
	s_sub_i32 s26, s26, 64
	s_cmpk_eq_i32 s26, 0xfe00
	s_waitcnt lgkmcnt(0)
	v_lshrrev_b64 v[24:25], v5, v[24:25]
	v_lshrrev_b64 v[22:23], v5, v[22:23]
	v_lshlrev_b32_e32 v24, 1, v24
	v_and_or_b32 v1, v24, 2, v1
	v_and_b32_e32 v22, 1, v22
	v_or_b32_e32 v1, v22, v1
	ds_read2_b64 v[22:25], v26 offset0:4 offset1:5
	v_lshlrev_b64 v[1:2], 2, v[1:2]
	s_waitcnt lgkmcnt(0)
	v_lshrrev_b64 v[24:25], v5, v[24:25]
	v_lshrrev_b64 v[22:23], v5, v[22:23]
	v_lshlrev_b32_e32 v24, 1, v24
	v_and_or_b32 v1, v24, 2, v1
	v_and_b32_e32 v22, 1, v22
	v_or_b32_e32 v1, v22, v1
	ds_read2_b64 v[22:25], v26 offset0:2 offset1:3
	v_lshlrev_b64 v[1:2], 2, v[1:2]
	s_waitcnt lgkmcnt(0)
	v_lshrrev_b64 v[24:25], v5, v[24:25]
	v_lshrrev_b64 v[22:23], v5, v[22:23]
	v_lshlrev_b32_e32 v24, 1, v24
	v_and_or_b32 v1, v24, 2, v1
	v_and_b32_e32 v22, 1, v22
	v_or_b32_e32 v1, v22, v1
	ds_read2_b64 v[22:25], v26 offset1:1
	v_lshlrev_b64 v[1:2], 2, v[1:2]
	s_waitcnt lgkmcnt(0)
	v_lshrrev_b64 v[24:25], v5, v[24:25]
	v_lshrrev_b64 v[22:23], v5, v[22:23]
	v_lshlrev_b32_e32 v24, 1, v24
	v_and_or_b32 v1, v24, 2, v1
	v_and_b32_e32 v22, 1, v22
	v_or_b32_e32 v1, v22, v1
	s_cbranch_scc0 .LBB0_8
; %bb.9:                                ;   in Loop: Header=BB0_3 Depth=1
	ds_write_b64 v6, v[1:2]
	s_waitcnt lgkmcnt(0)
	s_barrier
	s_and_saveexec_b64 s[28:29], s[0:1]
	s_cbranch_execz .LBB0_11
; %bb.10:                               ;   in Loop: Header=BB0_3 Depth=1
	ds_read_b64 v[22:23], v10
	s_waitcnt lgkmcnt(0)
	v_sub_co_u32_e64 v1, s[26:27], v1, v22
	v_subb_co_u32_e64 v2, s[26:27], v2, v23, s[26:27]
.LBB0_11:                               ;   in Loop: Header=BB0_3 Depth=1
	s_or_b64 exec, exec, s[28:29]
	v_cmp_ne_u64_e64 s[26:27], 0, v[1:2]
	s_and_saveexec_b64 s[28:29], s[24:25]
	s_cbranch_execz .LBB0_13
; %bb.12:                               ;   in Loop: Header=BB0_3 Depth=1
	v_lshrrev_b32_e32 v4, 26, v4
	v_add_u32_e32 v3, v3, v4
	v_ashrrev_i32_e32 v3, 6, v3
	v_ashrrev_i32_e32 v4, 31, v3
	v_lshlrev_b64 v[3:4], 3, v[3:4]
	v_mov_b32_e32 v22, s39
	v_add_co_u32_e64 v3, s[24:25], s38, v3
	v_addc_co_u32_e64 v4, s[24:25], v22, v4, s[24:25]
	v_mov_b32_e32 v22, s26
	v_mov_b32_e32 v23, s27
	global_store_dwordx2 v[3:4], v[22:23], off offset:8
.LBB0_13:                               ;   in Loop: Header=BB0_3 Depth=1
	s_or_b64 exec, exec, s[28:29]
	v_cndmask_b32_e64 v3, 0, 1, s[26:27]
	ds_bpermute_b32 v4, v11, v3
	s_waitcnt lgkmcnt(0)
	v_cndmask_b32_e64 v4, v4, 0, s[2:3]
	v_add_u32_e32 v4, v4, v3
	ds_bpermute_b32 v22, v12, v4
	s_waitcnt lgkmcnt(0)
	v_cndmask_b32_e64 v22, 0, v22, s[4:5]
	v_add_u32_e32 v4, v4, v22
	;; [unrolled: 4-line block ×6, first 2 shown]
	s_and_saveexec_b64 s[24:25], s[16:17]
; %bb.14:                               ;   in Loop: Header=BB0_3 Depth=1
	ds_write_b32 v17, v4
; %bb.15:                               ;   in Loop: Header=BB0_3 Depth=1
	s_or_b64 exec, exec, s[24:25]
	s_waitcnt vmcnt(0) lgkmcnt(0)
	s_barrier
	s_and_saveexec_b64 s[24:25], s[18:19]
	s_cbranch_execz .LBB0_17
; %bb.16:                               ;   in Loop: Header=BB0_3 Depth=1
	ds_read_b32 v22, v18
	s_waitcnt lgkmcnt(0)
	ds_bpermute_b32 v23, v11, v22
	s_waitcnt lgkmcnt(0)
	v_cndmask_b32_e64 v23, v23, 0, s[2:3]
	v_add_u32_e32 v22, v23, v22
	ds_bpermute_b32 v23, v12, v22
	s_waitcnt lgkmcnt(0)
	v_cndmask_b32_e64 v23, 0, v23, s[4:5]
	v_add_u32_e32 v22, v23, v22
	;; [unrolled: 4-line block ×6, first 2 shown]
	ds_write_b32 v18, v22
.LBB0_17:                               ;   in Loop: Header=BB0_3 Depth=1
	s_or_b64 exec, exec, s[24:25]
	v_cndmask_b32_e64 v3, v4, v3, s[2:3]
	s_waitcnt lgkmcnt(0)
	s_barrier
	s_and_saveexec_b64 s[24:25], s[20:21]
	s_cbranch_execnz .LBB0_20
; %bb.18:                               ;   in Loop: Header=BB0_3 Depth=1
	s_or_b64 exec, exec, s[24:25]
	s_and_saveexec_b64 s[24:25], s[26:27]
	s_cbranch_execnz .LBB0_21
.LBB0_19:                               ;   in Loop: Header=BB0_3 Depth=1
	s_or_b64 exec, exec, s[24:25]
	s_and_saveexec_b64 s[26:27], s[22:23]
	s_cbranch_execnz .LBB0_22
	s_branch .LBB0_29
.LBB0_20:                               ;   in Loop: Header=BB0_3 Depth=1
	ds_read_b32 v4, v19
	s_waitcnt lgkmcnt(0)
	v_add_u32_e32 v3, v4, v3
	s_or_b64 exec, exec, s[24:25]
	s_and_saveexec_b64 s[24:25], s[26:27]
	s_cbranch_execz .LBB0_19
.LBB0_21:                               ;   in Loop: Header=BB0_3 Depth=1
	v_lshlrev_b32_e32 v4, 3, v3
	ds_write_b64 v4, v[1:2] offset:8184
	s_or_b64 exec, exec, s[24:25]
	s_and_saveexec_b64 s[26:27], s[22:23]
	s_cbranch_execz .LBB0_29
.LBB0_22:                               ;   in Loop: Header=BB0_3 Depth=1
	s_cmp_lt_i32 s6, 1
	v_mov_b32_e32 v4, s44
	s_cbranch_scc1 .LBB0_26
; %bb.23:                               ;   in Loop: Header=BB0_3 Depth=1
	s_mov_b64 s[28:29], 0
.LBB0_24:                               ;   Parent Loop BB0_3 Depth=1
                                        ; =>  This Inner Loop Header: Depth=2
	v_mov_b32_e32 v1, s30
	v_mov_b32_e32 v2, s31
	flat_load_dword v4, v[1:2] glc
	s_waitcnt vmcnt(0) lgkmcnt(0)
	v_cmp_lt_i32_e64 s[24:25], -1, v4
	s_or_b64 s[28:29], s[24:25], s[28:29]
	s_andn2_b64 exec, exec, s[28:29]
	s_cbranch_execnz .LBB0_24
; %bb.25:                               ;   in Loop: Header=BB0_3 Depth=1
	s_or_b64 exec, exec, s[28:29]
.LBB0_26:                               ;   in Loop: Header=BB0_3 Depth=1
	v_mov_b32_e32 v22, s34
	v_add_u32_e32 v2, v4, v3
	v_mov_b32_e32 v23, s35
	flat_store_dword v[22:23], v2
	s_waitcnt vmcnt(0)
	v_mov_b32_e32 v22, s30
	v_mov_b32_e32 v23, s31
	s_cmp_lg_u32 s6, s45
	flat_store_dword v[22:23], v21
	s_waitcnt vmcnt(0)
	s_cbranch_scc1 .LBB0_28
; %bb.27:                               ;   in Loop: Header=BB0_3 Depth=1
	v_mov_b32_e32 v1, s7
	global_store_dwordx2 v9, v[1:2], s[38:39]
.LBB0_28:                               ;   in Loop: Header=BB0_3 Depth=1
	ds_write_b64 v9, v[3:4] offset:16384
.LBB0_29:                               ;   in Loop: Header=BB0_3 Depth=1
	s_or_b64 exec, exec, s[26:27]
	s_waitcnt vmcnt(0) lgkmcnt(0)
	s_barrier
	ds_read_b32 v1, v9 offset:16384
	s_waitcnt lgkmcnt(0)
	v_cmp_lt_i32_e64 s[24:25], v0, v1
	s_and_saveexec_b64 s[26:27], s[24:25]
	s_cbranch_execz .LBB0_2
; %bb.30:                               ;   in Loop: Header=BB0_3 Depth=1
	ds_read_b32 v3, v9 offset:16388
	ds_read_b64 v[1:2], v8
	v_mov_b32_e32 v22, s39
	s_waitcnt lgkmcnt(1)
	v_add_u32_e32 v3, v3, v0
	v_ashrrev_i32_e32 v4, 31, v3
	v_lshlrev_b64 v[3:4], 3, v[3:4]
	v_add_co_u32_e64 v3, s[24:25], s38, v3
	v_addc_co_u32_e64 v4, s[24:25], v22, v4, s[24:25]
	s_waitcnt lgkmcnt(0)
	global_store_dwordx2 v[3:4], v[1:2], off
	s_branch .LBB0_2
.LBB0_31:
	s_endpgm
	.section	.rodata,"a",@progbits
	.p2align	6, 0x0
	.amdhsa_kernel _ZL11MPCcompressILi64EEviPlS0_PVih
		.amdhsa_group_segment_fixed_size 16392
		.amdhsa_private_segment_fixed_size 0
		.amdhsa_kernarg_size 296
		.amdhsa_user_sgpr_count 6
		.amdhsa_user_sgpr_private_segment_buffer 1
		.amdhsa_user_sgpr_dispatch_ptr 0
		.amdhsa_user_sgpr_queue_ptr 0
		.amdhsa_user_sgpr_kernarg_segment_ptr 1
		.amdhsa_user_sgpr_dispatch_id 0
		.amdhsa_user_sgpr_flat_scratch_init 0
		.amdhsa_user_sgpr_private_segment_size 0
		.amdhsa_uses_dynamic_stack 0
		.amdhsa_system_sgpr_private_segment_wavefront_offset 0
		.amdhsa_system_sgpr_workgroup_id_x 1
		.amdhsa_system_sgpr_workgroup_id_y 0
		.amdhsa_system_sgpr_workgroup_id_z 0
		.amdhsa_system_sgpr_workgroup_info 0
		.amdhsa_system_vgpr_workitem_id 0
		.amdhsa_next_free_vgpr 29
		.amdhsa_next_free_sgpr 61
		.amdhsa_reserve_vcc 1
		.amdhsa_reserve_flat_scratch 0
		.amdhsa_float_round_mode_32 0
		.amdhsa_float_round_mode_16_64 0
		.amdhsa_float_denorm_mode_32 3
		.amdhsa_float_denorm_mode_16_64 3
		.amdhsa_dx10_clamp 1
		.amdhsa_ieee_mode 1
		.amdhsa_fp16_overflow 0
		.amdhsa_exception_fp_ieee_invalid_op 0
		.amdhsa_exception_fp_denorm_src 0
		.amdhsa_exception_fp_ieee_div_zero 0
		.amdhsa_exception_fp_ieee_overflow 0
		.amdhsa_exception_fp_ieee_underflow 0
		.amdhsa_exception_fp_ieee_inexact 0
		.amdhsa_exception_int_div_zero 0
	.end_amdhsa_kernel
	.section	.text._ZL11MPCcompressILi64EEviPlS0_PVih,"axG",@progbits,_ZL11MPCcompressILi64EEviPlS0_PVih,comdat
.Lfunc_end0:
	.size	_ZL11MPCcompressILi64EEviPlS0_PVih, .Lfunc_end0-_ZL11MPCcompressILi64EEviPlS0_PVih
                                        ; -- End function
	.set _ZL11MPCcompressILi64EEviPlS0_PVih.num_vgpr, 27
	.set _ZL11MPCcompressILi64EEviPlS0_PVih.num_agpr, 0
	.set _ZL11MPCcompressILi64EEviPlS0_PVih.numbered_sgpr, 46
	.set _ZL11MPCcompressILi64EEviPlS0_PVih.num_named_barrier, 0
	.set _ZL11MPCcompressILi64EEviPlS0_PVih.private_seg_size, 0
	.set _ZL11MPCcompressILi64EEviPlS0_PVih.uses_vcc, 1
	.set _ZL11MPCcompressILi64EEviPlS0_PVih.uses_flat_scratch, 0
	.set _ZL11MPCcompressILi64EEviPlS0_PVih.has_dyn_sized_stack, 0
	.set _ZL11MPCcompressILi64EEviPlS0_PVih.has_recursion, 0
	.set _ZL11MPCcompressILi64EEviPlS0_PVih.has_indirect_call, 0
	.section	.AMDGPU.csdata,"",@progbits
; Kernel info:
; codeLenInByte = 1768
; TotalNumSgprs: 50
; NumVgprs: 27
; ScratchSize: 0
; MemoryBound: 0
; FloatMode: 240
; IeeeMode: 1
; LDSByteSize: 16392 bytes/workgroup (compile time only)
; SGPRBlocks: 8
; VGPRBlocks: 7
; NumSGPRsForWavesPerEU: 65
; NumVGPRsForWavesPerEU: 29
; Occupancy: 8
; WaveLimiterHint : 0
; COMPUTE_PGM_RSRC2:SCRATCH_EN: 0
; COMPUTE_PGM_RSRC2:USER_SGPR: 6
; COMPUTE_PGM_RSRC2:TRAP_HANDLER: 0
; COMPUTE_PGM_RSRC2:TGID_X_EN: 1
; COMPUTE_PGM_RSRC2:TGID_Y_EN: 0
; COMPUTE_PGM_RSRC2:TGID_Z_EN: 0
; COMPUTE_PGM_RSRC2:TIDIG_COMP_CNT: 0
	.section	.text._ZL11MPCcompressILi32EEviPlS0_PVih,"axG",@progbits,_ZL11MPCcompressILi32EEviPlS0_PVih,comdat
	.globl	_ZL11MPCcompressILi32EEviPlS0_PVih ; -- Begin function _ZL11MPCcompressILi32EEviPlS0_PVih
	.p2align	8
	.type	_ZL11MPCcompressILi32EEviPlS0_PVih,@function
_ZL11MPCcompressILi32EEviPlS0_PVih:     ; @_ZL11MPCcompressILi32EEviPlS0_PVih
; %bb.0:
	s_load_dword s33, s[4:5], 0x0
	s_movk_i32 s7, 0x3ff
	s_waitcnt lgkmcnt(0)
	s_add_i32 s0, s33, 0x3ff
	s_ashr_i32 s1, s0, 31
	s_lshr_b32 s1, s1, 22
	s_add_i32 s0, s0, s1
	s_ashr_i32 s42, s0, 10
	s_cmp_ge_i32 s6, s42
	s_cbranch_scc1 .LBB1_33
; %bb.1:
	v_mbcnt_lo_u32_b32 v2, -1, 0
	v_mbcnt_hi_u32_b32 v2, -1, v2
	v_and_b32_e32 v3, 64, v2
	v_add_u32_e32 v4, -1, v2
	v_cmp_lt_i32_e64 s[8:9], v4, v3
	v_cndmask_b32_e64 v4, v4, v2, s[8:9]
	v_lshlrev_b32_e32 v11, 2, v4
	v_add_u32_e32 v4, -2, v2
	s_add_i32 s1, s33, 63
	v_cmp_lt_i32_e64 s[10:11], v4, v3
	s_load_dwordx4 s[36:39], s[4:5], 0x8
	s_load_dwordx2 s[26:27], s[4:5], 0x18
	s_load_dword s0, s[4:5], 0x20
	s_load_dword s43, s[4:5], 0x28
	s_ashr_i32 s2, s1, 31
	v_cndmask_b32_e64 v4, v4, v2, s[10:11]
	s_lshr_b32 s2, s2, 26
	v_lshlrev_b32_e32 v12, 2, v4
	v_add_u32_e32 v4, -4, v2
	s_add_i32 s1, s1, s2
	v_cmp_lt_i32_e64 s[12:13], v4, v3
	s_ashr_i32 s44, s1, 6
	v_cndmask_b32_e64 v4, v4, v2, s[12:13]
	s_add_i32 s44, s44, 1
	s_add_i32 s45, s42, -1
	s_add_i32 s1, s6, 1
	v_lshlrev_b32_e32 v13, 2, v4
	v_add_u32_e32 v4, -8, v2
	s_waitcnt lgkmcnt(0)
	s_cmp_lg_u32 s1, s43
	v_cmp_lt_i32_e64 s[14:15], v4, v3
	s_cselect_b32 s28, s1, 0
	v_cndmask_b32_e64 v4, v4, v2, s[14:15]
	v_cmp_eq_u32_e64 s[24:25], s7, v0
	s_ashr_i32 s7, s6, 31
	s_and_b32 s40, s0, 0xff
	v_lshlrev_b32_e32 v14, 2, v4
	v_add_u32_e32 v4, -16, v2
	s_lshl_b64 s[30:31], s[6:7], 2
	v_cmp_lt_i32_e64 s[16:17], v4, v3
	s_add_u32 s30, s26, s30
	v_subrev_co_u32_e32 v1, vcc, s40, v0
	v_cndmask_b32_e64 v2, v4, v2, s[16:17]
	s_addc_u32 s31, s27, s31
	s_ashr_i32 s29, s28, 31
	v_lshlrev_b32_e32 v6, 3, v0
	v_lshlrev_b32_e32 v7, 3, v1
	v_and_b32_e32 v1, 31, v0
	v_lshlrev_b32_e32 v15, 2, v2
	v_lshrrev_b32_e32 v2, 3, v0
	s_lshl_b64 s[28:29], s[28:29], 2
	v_and_b32_e32 v5, 63, v0
	v_cmp_eq_u32_e64 s[8:9], 0, v1
	v_cmp_lt_u32_e64 s[10:11], 1, v1
	v_cmp_lt_u32_e64 s[12:13], 3, v1
	;; [unrolled: 1-line block ×4, first 2 shown]
	v_cmp_eq_u32_e64 s[18:19], 31, v1
	v_and_b32_e32 v16, 0x7c, v2
	v_lshlrev_b32_e32 v17, 2, v1
	s_add_u32 s34, s26, s28
	v_and_b32_e32 v1, 0x1e00, v6
	v_or_b32_e32 v8, 0x2000, v6
	v_mov_b32_e32 v9, 0
	v_cmp_ne_u32_e64 s[0:1], 0, v0
	v_add_u32_e32 v10, -8, v6
	v_cmp_eq_u32_e64 s[2:3], 32, v5
	v_cmp_ne_u32_e64 s[4:5], 0, v5
	v_cmp_gt_u32_e64 s[20:21], 32, v0
	v_cmp_lt_u32_e64 s[22:23], 31, v0
	v_add_u32_e32 v18, -4, v16
	s_addc_u32 s35, s27, s29
	s_add_i32 s7, s40, 0x43504cff
	v_or_b32_e32 v19, 0x21c0, v1
	v_mov_b32_e32 v20, -1
	s_branch .LBB1_3
.LBB1_2:                                ;   in Loop: Header=BB1_3 Depth=1
	s_or_b64 exec, exec, s[28:29]
	s_add_i32 s6, s6, s43
	s_cmp_ge_i32 s6, s42
	s_cbranch_scc1 .LBB1_33
.LBB1_3:                                ; =>This Loop Header: Depth=1
                                        ;     Child Loop BB1_8 Depth 2
                                        ;     Child Loop BB1_26 Depth 2
	v_lshl_or_b32 v3, s6, 10, v0
	v_mov_b32_e32 v1, 0
	v_cmp_le_i32_e64 s[26:27], s33, v3
	v_mov_b32_e32 v2, 0
	v_cmp_gt_i32_e64 s[28:29], s33, v3
	s_and_saveexec_b64 s[40:41], s[28:29]
	s_cbranch_execz .LBB1_5
; %bb.4:                                ;   in Loop: Header=BB1_3 Depth=1
	v_ashrrev_i32_e32 v4, 31, v3
	v_lshlrev_b64 v[1:2], 3, v[3:4]
	v_mov_b32_e32 v4, s37
	v_add_co_u32_e64 v1, s[28:29], s36, v1
	v_addc_co_u32_e64 v2, s[28:29], v4, v2, s[28:29]
	global_load_dwordx2 v[1:2], v[1:2], off
	s_waitcnt vmcnt(0)
	ds_write_b64 v6, v[1:2]
.LBB1_5:                                ;   in Loop: Header=BB1_3 Depth=1
	s_or_b64 exec, exec, s[40:41]
	s_nor_b64 s[28:29], vcc, s[26:27]
	s_waitcnt vmcnt(0) lgkmcnt(0)
	s_barrier
	s_and_saveexec_b64 s[40:41], s[28:29]
	s_cbranch_execz .LBB1_7
; %bb.6:                                ;   in Loop: Header=BB1_3 Depth=1
	ds_read_b64 v[21:22], v7
	s_waitcnt lgkmcnt(0)
	v_sub_co_u32_e64 v1, s[28:29], v1, v21
	v_subb_co_u32_e64 v2, s[28:29], v2, v22, s[28:29]
.LBB1_7:                                ;   in Loop: Header=BB1_3 Depth=1
	s_or_b64 exec, exec, s[40:41]
	ds_write_b64 v8, v[1:2]
	v_mov_b32_e32 v1, 0
	v_mov_b32_e32 v2, 0
	s_mov_b32 s28, 0
	s_waitcnt lgkmcnt(0)
	s_barrier
.LBB1_8:                                ;   Parent Loop BB1_3 Depth=1
                                        ; =>  This Inner Loop Header: Depth=2
	v_add_u32_e32 v4, s28, v19
	ds_read2_b64 v[21:24], v4 offset0:6 offset1:7
	v_lshlrev_b64 v[1:2], 2, v[1:2]
	s_sub_i32 s28, s28, 64
	s_cmpk_eq_i32 s28, 0xfe00
	s_waitcnt lgkmcnt(0)
	v_lshrrev_b64 v[23:24], v5, v[23:24]
	v_lshrrev_b64 v[21:22], v5, v[21:22]
	v_lshlrev_b32_e32 v23, 1, v23
	v_and_or_b32 v1, v23, 2, v1
	v_and_b32_e32 v21, 1, v21
	v_or_b32_e32 v1, v21, v1
	ds_read2_b64 v[21:24], v4 offset0:4 offset1:5
	v_lshlrev_b64 v[1:2], 2, v[1:2]
	s_waitcnt lgkmcnt(0)
	v_lshrrev_b64 v[23:24], v5, v[23:24]
	v_lshrrev_b64 v[21:22], v5, v[21:22]
	v_lshlrev_b32_e32 v23, 1, v23
	v_and_or_b32 v1, v23, 2, v1
	v_and_b32_e32 v21, 1, v21
	v_or_b32_e32 v1, v21, v1
	ds_read2_b64 v[21:24], v4 offset0:2 offset1:3
	v_lshlrev_b64 v[1:2], 2, v[1:2]
	s_waitcnt lgkmcnt(0)
	v_lshrrev_b64 v[23:24], v5, v[23:24]
	v_lshrrev_b64 v[21:22], v5, v[21:22]
	v_lshlrev_b32_e32 v23, 1, v23
	v_and_or_b32 v1, v23, 2, v1
	v_and_b32_e32 v21, 1, v21
	v_or_b32_e32 v1, v21, v1
	ds_read2_b64 v[21:24], v4 offset1:1
	v_lshlrev_b64 v[1:2], 2, v[1:2]
	s_waitcnt lgkmcnt(0)
	v_lshrrev_b64 v[23:24], v5, v[23:24]
	v_lshrrev_b64 v[21:22], v5, v[21:22]
	v_lshlrev_b32_e32 v4, 1, v23
	v_and_or_b32 v1, v4, 2, v1
	v_and_b32_e32 v4, 1, v21
	v_or_b32_e32 v1, v4, v1
	s_cbranch_scc0 .LBB1_8
; %bb.9:                                ;   in Loop: Header=BB1_3 Depth=1
	ds_write_b64 v6, v[1:2]
	s_waitcnt lgkmcnt(0)
	s_barrier
	s_and_saveexec_b64 s[40:41], s[0:1]
	s_cbranch_execz .LBB1_11
; %bb.10:                               ;   in Loop: Header=BB1_3 Depth=1
	ds_read_b64 v[21:22], v10
	s_waitcnt lgkmcnt(0)
	v_sub_co_u32_e64 v1, s[28:29], v1, v21
	v_subb_co_u32_e64 v2, s[28:29], v2, v22, s[28:29]
.LBB1_11:                               ;   in Loop: Header=BB1_3 Depth=1
	s_or_b64 exec, exec, s[40:41]
	v_cmp_ne_u64_e64 s[28:29], 0, v[1:2]
	s_and_saveexec_b64 s[40:41], s[2:3]
; %bb.12:                               ;   in Loop: Header=BB1_3 Depth=1
	v_mov_b32_e32 v21, s28
	v_mov_b32_e32 v22, s29
	ds_write_b64 v8, v[21:22]
; %bb.13:                               ;   in Loop: Header=BB1_3 Depth=1
	s_or_b64 exec, exec, s[40:41]
	s_nor_b64 s[26:27], s[4:5], s[26:27]
	s_waitcnt lgkmcnt(0)
	s_barrier
	s_and_saveexec_b64 s[40:41], s[26:27]
	s_cbranch_execz .LBB1_15
; %bb.14:                               ;   in Loop: Header=BB1_3 Depth=1
	v_ashrrev_i32_e32 v3, 6, v3
	v_ashrrev_i32_e32 v4, 31, v3
	v_lshlrev_b64 v[3:4], 3, v[3:4]
	ds_read_b32 v22, v8 offset:256
	v_mov_b32_e32 v21, s39
	v_add_co_u32_e64 v3, s[26:27], s38, v3
	v_addc_co_u32_e64 v4, s[26:27], v21, v4, s[26:27]
	v_mov_b32_e32 v23, s29
	v_add_co_u32_e64 v21, s[26:27], 0, s28
	s_waitcnt lgkmcnt(0)
	v_addc_co_u32_e64 v22, s[26:27], v22, v23, s[26:27]
	global_store_dwordx2 v[3:4], v[21:22], off offset:8
.LBB1_15:                               ;   in Loop: Header=BB1_3 Depth=1
	s_or_b64 exec, exec, s[40:41]
	v_cndmask_b32_e64 v3, 0, 1, s[28:29]
	ds_bpermute_b32 v4, v11, v3
	s_waitcnt lgkmcnt(0)
	v_cndmask_b32_e64 v4, v4, 0, s[8:9]
	v_add_u32_e32 v4, v4, v3
	ds_bpermute_b32 v21, v12, v4
	s_waitcnt lgkmcnt(0)
	v_cndmask_b32_e64 v21, 0, v21, s[10:11]
	v_add_u32_e32 v4, v4, v21
	;; [unrolled: 4-line block ×5, first 2 shown]
	s_and_saveexec_b64 s[26:27], s[18:19]
; %bb.16:                               ;   in Loop: Header=BB1_3 Depth=1
	ds_write_b32 v16, v4
; %bb.17:                               ;   in Loop: Header=BB1_3 Depth=1
	s_or_b64 exec, exec, s[26:27]
	s_waitcnt vmcnt(0) lgkmcnt(0)
	s_barrier
	s_and_saveexec_b64 s[26:27], s[20:21]
	s_cbranch_execz .LBB1_19
; %bb.18:                               ;   in Loop: Header=BB1_3 Depth=1
	ds_read_b32 v21, v17
	s_waitcnt lgkmcnt(0)
	ds_bpermute_b32 v22, v11, v21
	s_waitcnt lgkmcnt(0)
	v_cndmask_b32_e64 v22, v22, 0, s[8:9]
	v_add_u32_e32 v21, v22, v21
	ds_bpermute_b32 v22, v12, v21
	s_waitcnt lgkmcnt(0)
	v_cndmask_b32_e64 v22, 0, v22, s[10:11]
	v_add_u32_e32 v21, v22, v21
	;; [unrolled: 4-line block ×5, first 2 shown]
	ds_write_b32 v17, v21
.LBB1_19:                               ;   in Loop: Header=BB1_3 Depth=1
	s_or_b64 exec, exec, s[26:27]
	v_cndmask_b32_e64 v3, v4, v3, s[8:9]
	s_waitcnt lgkmcnt(0)
	s_barrier
	s_and_saveexec_b64 s[26:27], s[22:23]
	s_cbranch_execnz .LBB1_22
; %bb.20:                               ;   in Loop: Header=BB1_3 Depth=1
	s_or_b64 exec, exec, s[26:27]
	s_and_saveexec_b64 s[26:27], s[28:29]
	s_cbranch_execnz .LBB1_23
.LBB1_21:                               ;   in Loop: Header=BB1_3 Depth=1
	s_or_b64 exec, exec, s[26:27]
	s_and_saveexec_b64 s[28:29], s[24:25]
	s_cbranch_execnz .LBB1_24
	s_branch .LBB1_31
.LBB1_22:                               ;   in Loop: Header=BB1_3 Depth=1
	ds_read_b32 v4, v18
	s_waitcnt lgkmcnt(0)
	v_add_u32_e32 v3, v4, v3
	s_or_b64 exec, exec, s[26:27]
	s_and_saveexec_b64 s[26:27], s[28:29]
	s_cbranch_execz .LBB1_21
.LBB1_23:                               ;   in Loop: Header=BB1_3 Depth=1
	v_lshlrev_b32_e32 v4, 3, v3
	ds_write_b64 v4, v[1:2] offset:8184
	s_or_b64 exec, exec, s[26:27]
	s_and_saveexec_b64 s[28:29], s[24:25]
	s_cbranch_execz .LBB1_31
.LBB1_24:                               ;   in Loop: Header=BB1_3 Depth=1
	s_cmp_lt_i32 s6, 1
	v_mov_b32_e32 v4, s44
	s_cbranch_scc1 .LBB1_28
; %bb.25:                               ;   in Loop: Header=BB1_3 Depth=1
	s_mov_b64 s[40:41], 0
.LBB1_26:                               ;   Parent Loop BB1_3 Depth=1
                                        ; =>  This Inner Loop Header: Depth=2
	v_mov_b32_e32 v1, s30
	v_mov_b32_e32 v2, s31
	flat_load_dword v4, v[1:2] glc
	s_waitcnt vmcnt(0) lgkmcnt(0)
	v_cmp_lt_i32_e64 s[26:27], -1, v4
	s_or_b64 s[40:41], s[26:27], s[40:41]
	s_andn2_b64 exec, exec, s[40:41]
	s_cbranch_execnz .LBB1_26
; %bb.27:                               ;   in Loop: Header=BB1_3 Depth=1
	s_or_b64 exec, exec, s[40:41]
.LBB1_28:                               ;   in Loop: Header=BB1_3 Depth=1
	v_mov_b32_e32 v21, s34
	v_add_u32_e32 v2, v4, v3
	v_mov_b32_e32 v22, s35
	flat_store_dword v[21:22], v2
	s_waitcnt vmcnt(0)
	v_mov_b32_e32 v21, s30
	v_mov_b32_e32 v22, s31
	s_cmp_lg_u32 s6, s45
	flat_store_dword v[21:22], v20
	s_waitcnt vmcnt(0)
	s_cbranch_scc1 .LBB1_30
; %bb.29:                               ;   in Loop: Header=BB1_3 Depth=1
	v_mov_b32_e32 v1, s7
	global_store_dwordx2 v9, v[1:2], s[38:39]
.LBB1_30:                               ;   in Loop: Header=BB1_3 Depth=1
	ds_write_b64 v9, v[3:4] offset:16384
.LBB1_31:                               ;   in Loop: Header=BB1_3 Depth=1
	s_or_b64 exec, exec, s[28:29]
	s_waitcnt vmcnt(0) lgkmcnt(0)
	s_barrier
	ds_read_b32 v1, v9 offset:16384
	s_waitcnt lgkmcnt(0)
	v_cmp_lt_i32_e64 s[26:27], v0, v1
	s_and_saveexec_b64 s[28:29], s[26:27]
	s_cbranch_execz .LBB1_2
; %bb.32:                               ;   in Loop: Header=BB1_3 Depth=1
	ds_read_b32 v3, v9 offset:16388
	ds_read_b64 v[1:2], v8
	v_mov_b32_e32 v21, s39
	s_waitcnt lgkmcnt(1)
	v_add_u32_e32 v3, v3, v0
	v_ashrrev_i32_e32 v4, 31, v3
	v_lshlrev_b64 v[3:4], 3, v[3:4]
	v_add_co_u32_e64 v3, s[26:27], s38, v3
	v_addc_co_u32_e64 v4, s[26:27], v21, v4, s[26:27]
	s_waitcnt lgkmcnt(0)
	global_store_dwordx2 v[3:4], v[1:2], off
	s_branch .LBB1_2
.LBB1_33:
	s_endpgm
	.section	.rodata,"a",@progbits
	.p2align	6, 0x0
	.amdhsa_kernel _ZL11MPCcompressILi32EEviPlS0_PVih
		.amdhsa_group_segment_fixed_size 16392
		.amdhsa_private_segment_fixed_size 0
		.amdhsa_kernarg_size 296
		.amdhsa_user_sgpr_count 6
		.amdhsa_user_sgpr_private_segment_buffer 1
		.amdhsa_user_sgpr_dispatch_ptr 0
		.amdhsa_user_sgpr_queue_ptr 0
		.amdhsa_user_sgpr_kernarg_segment_ptr 1
		.amdhsa_user_sgpr_dispatch_id 0
		.amdhsa_user_sgpr_flat_scratch_init 0
		.amdhsa_user_sgpr_private_segment_size 0
		.amdhsa_uses_dynamic_stack 0
		.amdhsa_system_sgpr_private_segment_wavefront_offset 0
		.amdhsa_system_sgpr_workgroup_id_x 1
		.amdhsa_system_sgpr_workgroup_id_y 0
		.amdhsa_system_sgpr_workgroup_id_z 0
		.amdhsa_system_sgpr_workgroup_info 0
		.amdhsa_system_vgpr_workitem_id 0
		.amdhsa_next_free_vgpr 29
		.amdhsa_next_free_sgpr 61
		.amdhsa_reserve_vcc 1
		.amdhsa_reserve_flat_scratch 0
		.amdhsa_float_round_mode_32 0
		.amdhsa_float_round_mode_16_64 0
		.amdhsa_float_denorm_mode_32 3
		.amdhsa_float_denorm_mode_16_64 3
		.amdhsa_dx10_clamp 1
		.amdhsa_ieee_mode 1
		.amdhsa_fp16_overflow 0
		.amdhsa_exception_fp_ieee_invalid_op 0
		.amdhsa_exception_fp_denorm_src 0
		.amdhsa_exception_fp_ieee_div_zero 0
		.amdhsa_exception_fp_ieee_overflow 0
		.amdhsa_exception_fp_ieee_underflow 0
		.amdhsa_exception_fp_ieee_inexact 0
		.amdhsa_exception_int_div_zero 0
	.end_amdhsa_kernel
	.section	.text._ZL11MPCcompressILi32EEviPlS0_PVih,"axG",@progbits,_ZL11MPCcompressILi32EEviPlS0_PVih,comdat
.Lfunc_end1:
	.size	_ZL11MPCcompressILi32EEviPlS0_PVih, .Lfunc_end1-_ZL11MPCcompressILi32EEviPlS0_PVih
                                        ; -- End function
	.set _ZL11MPCcompressILi32EEviPlS0_PVih.num_vgpr, 25
	.set _ZL11MPCcompressILi32EEviPlS0_PVih.num_agpr, 0
	.set _ZL11MPCcompressILi32EEviPlS0_PVih.numbered_sgpr, 46
	.set _ZL11MPCcompressILi32EEviPlS0_PVih.num_named_barrier, 0
	.set _ZL11MPCcompressILi32EEviPlS0_PVih.private_seg_size, 0
	.set _ZL11MPCcompressILi32EEviPlS0_PVih.uses_vcc, 1
	.set _ZL11MPCcompressILi32EEviPlS0_PVih.uses_flat_scratch, 0
	.set _ZL11MPCcompressILi32EEviPlS0_PVih.has_dyn_sized_stack, 0
	.set _ZL11MPCcompressILi32EEviPlS0_PVih.has_recursion, 0
	.set _ZL11MPCcompressILi32EEviPlS0_PVih.has_indirect_call, 0
	.section	.AMDGPU.csdata,"",@progbits
; Kernel info:
; codeLenInByte = 1764
; TotalNumSgprs: 50
; NumVgprs: 25
; ScratchSize: 0
; MemoryBound: 0
; FloatMode: 240
; IeeeMode: 1
; LDSByteSize: 16392 bytes/workgroup (compile time only)
; SGPRBlocks: 8
; VGPRBlocks: 7
; NumSGPRsForWavesPerEU: 65
; NumVGPRsForWavesPerEU: 29
; Occupancy: 8
; WaveLimiterHint : 0
; COMPUTE_PGM_RSRC2:SCRATCH_EN: 0
; COMPUTE_PGM_RSRC2:USER_SGPR: 6
; COMPUTE_PGM_RSRC2:TRAP_HANDLER: 0
; COMPUTE_PGM_RSRC2:TGID_X_EN: 1
; COMPUTE_PGM_RSRC2:TGID_Y_EN: 0
; COMPUTE_PGM_RSRC2:TGID_Z_EN: 0
; COMPUTE_PGM_RSRC2:TIDIG_COMP_CNT: 0
	.section	.text._ZL13MPCdecompressILi64EEvPlS0_PVi,"axG",@progbits,_ZL13MPCdecompressILi64EEvPlS0_PVi,comdat
	.globl	_ZL13MPCdecompressILi64EEvPlS0_PVi ; -- Begin function _ZL13MPCdecompressILi64EEvPlS0_PVi
	.p2align	8
	.type	_ZL13MPCdecompressILi64EEvPlS0_PVi,@function
_ZL13MPCdecompressILi64EEvPlS0_PVi:     ; @_ZL13MPCdecompressILi64EEvPlS0_PVi
; %bb.0:
	s_load_dwordx2 s[44:45], s[4:5], 0x0
	s_movk_i32 s7, 0x3ff
	s_waitcnt lgkmcnt(0)
	s_load_dwordx2 s[46:47], s[44:45], 0x0
	s_waitcnt lgkmcnt(0)
	s_add_i32 s0, s47, 0x3ff
	s_ashr_i32 s1, s0, 31
	s_lshr_b32 s1, s1, 22
	s_add_i32 s0, s0, s1
	s_ashr_i32 s33, s0, 10
	s_cmp_ge_i32 s6, s33
	s_cbranch_scc1 .LBB2_49
; %bb.1:
	s_add_i32 s0, s47, 63
	s_load_dwordx4 s[40:43], s[4:5], 0x8
	s_load_dword s54, s[4:5], 0x18
	s_ashr_i32 s1, s0, 31
	s_lshr_b32 s1, s1, 26
	s_add_i32 s0, s0, s1
	s_ashr_i32 s55, s0, 6
	s_add_i32 s0, s47, -1
	s_add_i32 s55, s55, 1
	s_or_b32 s56, s0, 63
	s_add_i32 s0, s6, 1
	s_waitcnt lgkmcnt(0)
	s_cmp_lg_u32 s0, s54
	v_mbcnt_lo_u32_b32 v2, -1, 0
	s_cselect_b32 s22, s0, 0
	s_and_b32 s46, s46, 31
	v_mbcnt_hi_u32_b32 v11, -1, v2
	s_add_i32 s46, s46, 1
	v_and_b32_e32 v12, 64, v11
	v_add_u32_e32 v2, -1, v11
	v_cmp_lt_i32_e32 vcc, v2, v12
	v_mov_b32_e32 v3, 0x2000
	v_cvt_f32_ubyte0_e32 v4, s46
	v_cndmask_b32_e32 v2, v2, v11, vcc
	v_lshl_or_b32 v21, v0, 3, v3
	v_cvt_f32_u32_e32 v3, v0
	v_rcp_iflag_f32_e32 v5, v4
	v_lshlrev_b32_e32 v13, 2, v2
	v_add_u32_e32 v2, -2, v11
	v_and_b32_e32 v9, 63, v0
	v_cmp_lt_i32_e64 s[2:3], v2, v12
	v_xor_b32_e32 v1, 63, v9
	v_cndmask_b32_e64 v2, v2, v11, s[2:3]
	v_lshlrev_b32_e32 v14, 2, v2
	v_add_u32_e32 v2, -4, v11
	v_cmp_gt_u32_e64 s[34:35], s46, v1
	v_mul_f32_e32 v1, v3, v5
	v_cmp_lt_i32_e64 s[4:5], v2, v12
	v_trunc_f32_e32 v1, v1
	v_cndmask_b32_e64 v2, v2, v11, s[4:5]
	v_cvt_u32_f32_e32 v5, v1
	v_lshlrev_b32_e32 v15, 2, v2
	v_add_u32_e32 v2, -8, v11
	v_cmp_lt_i32_e64 s[8:9], v2, v12
	v_mad_f32 v1, -v1, v4, v3
	v_cndmask_b32_e64 v2, v2, v11, s[8:9]
	v_cmp_ge_f32_e64 s[38:39], |v1|, v4
	v_lshlrev_b32_e32 v16, 2, v2
	v_add_u32_e32 v2, -16, v11
	v_addc_co_u32_e64 v1, s[38:39], 0, v5, s[38:39]
	v_cmp_lt_i32_e64 s[10:11], v2, v12
	v_mul_lo_u32 v1, v1, s46
	v_cndmask_b32_e64 v2, v2, v11, s[10:11]
	v_lshlrev_b32_e32 v17, 2, v2
	v_subrev_u32_e32 v2, 32, v11
	v_cmp_lt_i32_e64 s[12:13], v2, v12
	v_cmp_eq_u32_e64 s[20:21], s7, v0
	s_ashr_i32 s7, s6, 31
	v_cndmask_b32_e64 v2, v2, v11, s[12:13]
	s_lshl_b64 s[24:25], s[6:7], 2
	v_sub_u32_e32 v1, v0, v1
	v_lshlrev_b32_e32 v18, 2, v2
	v_lshrrev_b32_e32 v2, 6, v0
	s_add_u32 s48, s42, s24
	v_and_b32_e32 v1, 0x3ff, v1
	s_addc_u32 s49, s43, s25
	s_ashr_i32 s23, s22, 31
	v_mad_u32_u24 v1, v2, s46, v1
	s_lshl_b64 s[22:23], s[22:23], 2
	v_lshlrev_b32_e32 v24, 3, v1
	v_subrev_u32_e32 v1, s46, v1
	v_lshlrev_b32_e32 v19, 2, v2
	v_lshlrev_b32_e32 v20, 2, v9
	s_add_u32 s42, s42, s22
	v_mul_u32_u24_e32 v3, s46, v9
	v_lshlrev_b32_e32 v4, 3, v2
	v_lshlrev_b32_e32 v25, 3, v1
	v_mov_b32_e32 v1, 0x21c0
	v_mov_b32_e32 v10, 0
	v_cmp_eq_u32_e32 vcc, 0, v9
	v_cmp_ne_u32_e64 s[0:1], 0, v9
	v_cmp_lt_u32_e64 s[2:3], 1, v9
	v_cmp_lt_u32_e64 s[4:5], 3, v9
	;; [unrolled: 1-line block ×5, first 2 shown]
	v_cmp_eq_u32_e64 s[14:15], 63, v9
	v_cmp_gt_u32_e64 s[16:17], 64, v0
	v_cmp_lt_u32_e64 s[18:19], 63, v0
	s_addc_u32 s43, s43, s23
	v_cmp_gt_u32_e64 s[22:23], 2, v9
	v_cmp_gt_u32_e64 s[24:25], 4, v9
	;; [unrolled: 1-line block ×5, first 2 shown]
	v_add_u32_e32 v22, v19, v19
	v_cmp_gt_u32_e64 s[36:37], s46, v2
	v_lshl_add_u32 v23, v3, 3, v4
	v_lshl_or_b32 v26, v2, 9, v1
	v_add_u32_e32 v27, v20, v20
	s_branch .LBB2_3
.LBB2_2:                                ;   in Loop: Header=BB2_3 Depth=1
	s_or_b64 exec, exec, s[50:51]
	s_add_i32 s6, s6, s54
	s_cmp_ge_i32 s6, s33
	s_cbranch_scc1 .LBB2_49
.LBB2_3:                                ; =>This Loop Header: Depth=1
                                        ;     Child Loop BB2_14 Depth 2
                                        ;     Child Loop BB2_38 Depth 2
	;; [unrolled: 1-line block ×3, first 2 shown]
	v_lshl_or_b32 v1, s6, 10, v0
	v_cmp_ge_i32_e64 s[38:39], s56, v1
	v_ashrrev_i32_e32 v2, 31, v1
	v_mov_b32_e32 v7, 0
	s_and_saveexec_b64 s[50:51], s[38:39]
	s_cbranch_execz .LBB2_5
; %bb.4:                                ;   in Loop: Header=BB2_3 Depth=1
	v_lshrrev_b32_e32 v3, 26, v2
	v_add_u32_e32 v3, v1, v3
	v_ashrrev_i32_e32 v3, 6, v3
	v_ashrrev_i32_e32 v4, 31, v3
	v_lshlrev_b64 v[3:4], 3, v[3:4]
	v_mov_b32_e32 v5, s45
	v_add_co_u32_e64 v3, s[38:39], s44, v3
	v_addc_co_u32_e64 v4, s[38:39], v5, v4, s[38:39]
	global_load_dwordx2 v[3:4], v[3:4], off offset:8
	s_waitcnt vmcnt(0)
	v_lshrrev_b64 v[3:4], v9, v[3:4]
	v_and_b32_e32 v7, 1, v3
.LBB2_5:                                ;   in Loop: Header=BB2_3 Depth=1
	s_or_b64 exec, exec, s[50:51]
	ds_bpermute_b32 v3, v13, v7
	s_waitcnt vmcnt(0) lgkmcnt(0)
	s_barrier
	v_cndmask_b32_e64 v3, v3, 0, vcc
	v_add_u32_e32 v3, v3, v7
	ds_bpermute_b32 v4, v14, v3
	s_waitcnt lgkmcnt(0)
	v_cndmask_b32_e64 v4, 0, v4, s[2:3]
	v_add_u32_e32 v3, v3, v4
	ds_bpermute_b32 v4, v15, v3
	s_waitcnt lgkmcnt(0)
	v_cndmask_b32_e64 v4, 0, v4, s[4:5]
	;; [unrolled: 4-line block ×5, first 2 shown]
	v_add_u32_e32 v3, v3, v4
	s_and_saveexec_b64 s[38:39], s[14:15]
; %bb.6:                                ;   in Loop: Header=BB2_3 Depth=1
	ds_write_b32 v19, v3
; %bb.7:                                ;   in Loop: Header=BB2_3 Depth=1
	s_or_b64 exec, exec, s[38:39]
	s_waitcnt lgkmcnt(0)
	s_barrier
	s_and_saveexec_b64 s[38:39], s[16:17]
	s_cbranch_execz .LBB2_9
; %bb.8:                                ;   in Loop: Header=BB2_3 Depth=1
	ds_read_b32 v4, v20
	s_waitcnt lgkmcnt(0)
	ds_bpermute_b32 v5, v13, v4
	s_waitcnt lgkmcnt(0)
	v_cndmask_b32_e64 v5, v5, 0, vcc
	v_add_u32_e32 v4, v5, v4
	ds_bpermute_b32 v5, v14, v4
	s_waitcnt lgkmcnt(0)
	v_cndmask_b32_e64 v5, 0, v5, s[2:3]
	v_add_u32_e32 v4, v5, v4
	ds_bpermute_b32 v5, v15, v4
	s_waitcnt lgkmcnt(0)
	v_cndmask_b32_e64 v5, 0, v5, s[4:5]
	;; [unrolled: 4-line block ×5, first 2 shown]
	v_add_u32_e32 v4, v5, v4
	ds_write_b32 v20, v4
.LBB2_9:                                ;   in Loop: Header=BB2_3 Depth=1
	s_or_b64 exec, exec, s[38:39]
	v_cndmask_b32_e32 v5, v3, v7, vcc
	s_waitcnt lgkmcnt(0)
	s_barrier
	s_and_saveexec_b64 s[38:39], s[18:19]
	s_cbranch_execz .LBB2_11
; %bb.10:                               ;   in Loop: Header=BB2_3 Depth=1
	v_add_u32_e32 v3, -4, v19
	ds_read_b32 v3, v3
	s_waitcnt lgkmcnt(0)
	v_add_u32_e32 v5, v3, v5
.LBB2_11:                               ;   in Loop: Header=BB2_3 Depth=1
	s_or_b64 exec, exec, s[38:39]
	s_and_saveexec_b64 s[50:51], s[20:21]
	s_cbranch_execz .LBB2_17
; %bb.12:                               ;   in Loop: Header=BB2_3 Depth=1
	s_cmp_lt_i32 s6, 1
	v_mov_b32_e32 v6, s55
	s_cbranch_scc1 .LBB2_16
; %bb.13:                               ;   in Loop: Header=BB2_3 Depth=1
	s_mov_b64 s[52:53], 0
.LBB2_14:                               ;   Parent Loop BB2_3 Depth=1
                                        ; =>  This Inner Loop Header: Depth=2
	v_mov_b32_e32 v3, s48
	v_mov_b32_e32 v4, s49
	flat_load_dword v6, v[3:4] glc
	s_waitcnt vmcnt(0) lgkmcnt(0)
	v_cmp_lt_i32_e64 s[38:39], -1, v6
	s_or_b64 s[52:53], s[38:39], s[52:53]
	s_andn2_b64 exec, exec, s[52:53]
	s_cbranch_execnz .LBB2_14
; %bb.15:                               ;   in Loop: Header=BB2_3 Depth=1
	s_or_b64 exec, exec, s[52:53]
.LBB2_16:                               ;   in Loop: Header=BB2_3 Depth=1
	v_mov_b32_e32 v3, s42
	v_add_u32_e32 v8, v6, v5
	v_mov_b32_e32 v4, s43
	flat_store_dword v[3:4], v8
	s_waitcnt vmcnt(0)
	v_mov_b32_e32 v3, s48
	v_mov_b32_e32 v4, s49
	v_mov_b32_e32 v8, -1
	flat_store_dword v[3:4], v8
	s_waitcnt vmcnt(0)
	ds_write_b64 v10, v[5:6] offset:16384
.LBB2_17:                               ;   in Loop: Header=BB2_3 Depth=1
	s_or_b64 exec, exec, s[50:51]
	s_waitcnt lgkmcnt(0)
	s_barrier
	ds_read_b32 v3, v10 offset:16384
	s_waitcnt lgkmcnt(0)
	v_cmp_lt_i32_e64 s[38:39], v0, v3
	s_and_saveexec_b64 s[50:51], s[38:39]
	s_cbranch_execz .LBB2_19
; %bb.18:                               ;   in Loop: Header=BB2_3 Depth=1
	ds_read_b32 v3, v10 offset:16388
	v_mov_b32_e32 v6, s45
	s_waitcnt lgkmcnt(0)
	v_add_u32_e32 v3, v3, v0
	v_ashrrev_i32_e32 v4, 31, v3
	v_lshlrev_b64 v[3:4], 3, v[3:4]
	v_add_co_u32_e64 v3, s[38:39], s44, v3
	v_addc_co_u32_e64 v4, s[38:39], v6, v4, s[38:39]
	global_load_dwordx2 v[3:4], v[3:4], off
	s_waitcnt vmcnt(0)
	ds_write_b64 v21, v[3:4]
.LBB2_19:                               ;   in Loop: Header=BB2_3 Depth=1
	s_or_b64 exec, exec, s[50:51]
	v_mov_b32_e32 v3, 0
	v_mov_b32_e32 v4, 0
	v_cmp_ne_u32_e64 s[38:39], 0, v7
	s_waitcnt lgkmcnt(0)
	s_barrier
	s_and_saveexec_b64 s[50:51], s[38:39]
; %bb.20:                               ;   in Loop: Header=BB2_3 Depth=1
	v_lshlrev_b32_e32 v3, 3, v5
	ds_read_b64 v[3:4], v3 offset:8184
; %bb.21:                               ;   in Loop: Header=BB2_3 Depth=1
	s_or_b64 exec, exec, s[50:51]
	s_waitcnt lgkmcnt(0)
	ds_bpermute_b32 v7, v13, v3
	ds_bpermute_b32 v6, v13, v4
	v_mov_b32_e32 v5, v3
	s_and_saveexec_b64 s[50:51], s[0:1]
	s_cbranch_execz .LBB2_23
; %bb.22:                               ;   in Loop: Header=BB2_3 Depth=1
	s_waitcnt lgkmcnt(1)
	v_add_co_u32_e64 v5, s[38:39], v3, v7
	v_addc_co_u32_e64 v4, s[38:39], 0, v4, s[38:39]
	v_add_co_u32_e64 v3, s[38:39], 0, v5
	s_waitcnt lgkmcnt(0)
	v_addc_co_u32_e64 v4, s[38:39], v6, v4, s[38:39]
.LBB2_23:                               ;   in Loop: Header=BB2_3 Depth=1
	s_or_b64 exec, exec, s[50:51]
	s_waitcnt lgkmcnt(1)
	ds_bpermute_b32 v7, v14, v5
	s_waitcnt lgkmcnt(1)
	ds_bpermute_b32 v6, v14, v4
	s_and_saveexec_b64 s[50:51], s[2:3]
	s_cbranch_execz .LBB2_25
; %bb.24:                               ;   in Loop: Header=BB2_3 Depth=1
	s_waitcnt lgkmcnt(1)
	v_add_co_u32_e64 v5, s[38:39], v3, v7
	v_addc_co_u32_e64 v4, s[38:39], 0, v4, s[38:39]
	v_add_co_u32_e64 v3, s[38:39], 0, v5
	s_waitcnt lgkmcnt(0)
	v_addc_co_u32_e64 v4, s[38:39], v6, v4, s[38:39]
.LBB2_25:                               ;   in Loop: Header=BB2_3 Depth=1
	s_or_b64 exec, exec, s[50:51]
	s_waitcnt lgkmcnt(1)
	ds_bpermute_b32 v7, v15, v5
	s_waitcnt lgkmcnt(1)
	ds_bpermute_b32 v6, v15, v4
	;; [unrolled: 15-line block ×4, first 2 shown]
	s_and_saveexec_b64 s[50:51], s[10:11]
	s_cbranch_execz .LBB2_31
; %bb.30:                               ;   in Loop: Header=BB2_3 Depth=1
	s_waitcnt lgkmcnt(1)
	v_add_co_u32_e64 v5, s[38:39], v3, v7
	v_addc_co_u32_e64 v4, s[38:39], 0, v4, s[38:39]
	v_add_co_u32_e64 v3, s[38:39], 0, v5
	s_waitcnt lgkmcnt(0)
	v_addc_co_u32_e64 v4, s[38:39], v6, v4, s[38:39]
.LBB2_31:                               ;   in Loop: Header=BB2_3 Depth=1
	s_or_b64 exec, exec, s[50:51]
	ds_bpermute_b32 v5, v18, v5
	s_waitcnt lgkmcnt(1)
	ds_bpermute_b32 v6, v18, v4
	s_waitcnt lgkmcnt(1)
	v_add_co_u32_e64 v5, s[38:39], v3, v5
	v_addc_co_u32_e64 v7, s[38:39], 0, v4, s[38:39]
	v_add_co_u32_e64 v5, s[38:39], 0, v5
	s_waitcnt lgkmcnt(0)
	v_addc_co_u32_e64 v6, s[38:39], v7, v6, s[38:39]
	s_and_saveexec_b64 s[38:39], s[14:15]
; %bb.32:                               ;   in Loop: Header=BB2_3 Depth=1
	ds_write_b64 v22, v[5:6]
; %bb.33:                               ;   in Loop: Header=BB2_3 Depth=1
	s_or_b64 exec, exec, s[38:39]
	s_waitcnt lgkmcnt(0)
	s_barrier
	s_and_saveexec_b64 s[50:51], s[16:17]
	s_cbranch_execz .LBB2_35
; %bb.34:                               ;   in Loop: Header=BB2_3 Depth=1
	ds_read_b64 v[7:8], v27
	s_waitcnt lgkmcnt(0)
	ds_bpermute_b32 v29, v13, v7
	ds_bpermute_b32 v28, v13, v8
	s_waitcnt lgkmcnt(1)
	v_cndmask_b32_e64 v29, v29, 0, vcc
	s_waitcnt lgkmcnt(0)
	v_cndmask_b32_e64 v28, v28, 0, vcc
	v_add_co_u32_e64 v7, s[38:39], v29, v7
	v_addc_co_u32_e64 v8, s[38:39], v28, v8, s[38:39]
	ds_bpermute_b32 v29, v14, v7
	ds_bpermute_b32 v28, v14, v8
	s_waitcnt lgkmcnt(1)
	v_cndmask_b32_e64 v29, v29, 0, s[22:23]
	s_waitcnt lgkmcnt(0)
	v_cndmask_b32_e64 v28, v28, 0, s[22:23]
	v_add_co_u32_e64 v7, s[38:39], v29, v7
	v_addc_co_u32_e64 v8, s[38:39], v28, v8, s[38:39]
	ds_bpermute_b32 v29, v15, v7
	ds_bpermute_b32 v28, v15, v8
	s_waitcnt lgkmcnt(1)
	v_cndmask_b32_e64 v29, v29, 0, s[24:25]
	s_waitcnt lgkmcnt(0)
	v_cndmask_b32_e64 v28, v28, 0, s[24:25]
	;; [unrolled: 8-line block ×5, first 2 shown]
	v_add_co_u32_e64 v7, s[38:39], v29, v7
	v_addc_co_u32_e64 v8, s[38:39], v28, v8, s[38:39]
	ds_write_b64 v27, v[7:8]
.LBB2_35:                               ;   in Loop: Header=BB2_3 Depth=1
	s_or_b64 exec, exec, s[50:51]
	v_cndmask_b32_e64 v4, v6, v4, s[30:31]
	v_cndmask_b32_e64 v3, v5, v3, s[30:31]
	s_waitcnt lgkmcnt(0)
	s_barrier
	s_and_saveexec_b64 s[50:51], s[18:19]
	s_cbranch_execz .LBB2_37
; %bb.36:                               ;   in Loop: Header=BB2_3 Depth=1
	v_add_u32_e32 v5, -8, v22
	ds_read_b64 v[5:6], v5
	s_waitcnt lgkmcnt(0)
	v_add_co_u32_e64 v3, s[38:39], v5, v3
	v_addc_co_u32_e64 v4, s[38:39], v6, v4, s[38:39]
.LBB2_37:                               ;   in Loop: Header=BB2_3 Depth=1
	s_or_b64 exec, exec, s[50:51]
	ds_write_b64 v21, v[3:4]
	v_mov_b32_e32 v3, 0
	v_mov_b32_e32 v4, 0
	s_mov_b32 s7, 0
	s_waitcnt lgkmcnt(0)
	s_barrier
.LBB2_38:                               ;   Parent Loop BB2_3 Depth=1
                                        ; =>  This Inner Loop Header: Depth=2
	v_add_u32_e32 v30, s7, v26
	ds_read2_b64 v[5:8], v30 offset0:6 offset1:7
	v_lshlrev_b64 v[28:29], 2, v[3:4]
	s_sub_i32 s7, s7, 64
	s_cmpk_eq_i32 s7, 0xfe00
	s_waitcnt lgkmcnt(0)
	v_lshrrev_b64 v[7:8], v9, v[7:8]
	v_lshlrev_b32_e32 v3, 1, v7
	v_and_or_b32 v7, v3, 2, v28
	v_lshrrev_b64 v[3:4], v9, v[5:6]
	v_and_b32_e32 v3, 1, v3
	v_or_b32_e32 v28, v3, v7
	ds_read2_b64 v[3:6], v30 offset0:4 offset1:5
	v_lshlrev_b64 v[7:8], 2, v[28:29]
	s_waitcnt lgkmcnt(0)
	v_lshrrev_b64 v[5:6], v9, v[5:6]
	v_lshrrev_b64 v[3:4], v9, v[3:4]
	v_lshlrev_b32_e32 v5, 1, v5
	v_and_or_b32 v5, v5, 2, v7
	v_and_b32_e32 v3, 1, v3
	v_or_b32_e32 v7, v3, v5
	ds_read2_b64 v[3:6], v30 offset0:2 offset1:3
	v_lshlrev_b64 v[28:29], 2, v[7:8]
	s_waitcnt lgkmcnt(0)
	v_lshrrev_b64 v[5:6], v9, v[5:6]
	v_lshrrev_b64 v[3:4], v9, v[3:4]
	v_lshlrev_b32_e32 v5, 1, v5
	v_and_or_b32 v5, v5, 2, v28
	v_and_b32_e32 v3, 1, v3
	v_or_b32_e32 v28, v3, v5
	ds_read2_b64 v[5:8], v30 offset1:1
	v_lshlrev_b64 v[3:4], 2, v[28:29]
	s_waitcnt lgkmcnt(0)
	v_lshrrev_b64 v[7:8], v9, v[7:8]
	v_lshrrev_b64 v[5:6], v9, v[5:6]
	v_lshlrev_b32_e32 v7, 1, v7
	v_and_or_b32 v3, v7, 2, v3
	v_and_b32_e32 v5, 1, v5
	v_or_b32_e32 v3, v5, v3
	s_cbranch_scc0 .LBB2_38
; %bb.39:                               ;   in Loop: Header=BB2_3 Depth=1
	v_mov_b32_e32 v6, v4
	v_mov_b32_e32 v8, v4
	;; [unrolled: 1-line block ×3, first 2 shown]
	s_mov_b32 s7, s46
	v_mov_b32_e32 v7, v3
.LBB2_40:                               ;   Parent Loop BB2_3 Depth=1
                                        ; =>  This Inner Loop Header: Depth=2
	v_subrev_u32_e32 v28, s7, v11
	v_cmp_lt_i32_e64 s[38:39], v28, v12
	v_cndmask_b32_e64 v28, v28, v11, s[38:39]
	v_lshlrev_b32_e32 v28, 2, v28
	ds_bpermute_b32 v29, v28, v7
	ds_bpermute_b32 v28, v28, v8
	s_waitcnt lgkmcnt(1)
	v_add_co_u32_e64 v29, s[38:39], v7, v29
	v_addc_co_u32_e64 v30, s[38:39], 0, v8, s[38:39]
	v_add_co_u32_e64 v29, s[38:39], 0, v29
	s_waitcnt lgkmcnt(0)
	v_addc_co_u32_e64 v28, s[38:39], v30, v28, s[38:39]
	v_cmp_gt_u32_e64 s[38:39], s7, v9
	v_cndmask_b32_e64 v4, v28, v4, s[38:39]
	v_cndmask_b32_e64 v3, v29, v3, s[38:39]
	;; [unrolled: 1-line block ×6, first 2 shown]
	s_lshl_b32 s38, s7, 1
	s_cmp_gt_u32 s7, 31
	s_mov_b32 s7, s38
	s_cbranch_scc0 .LBB2_40
; %bb.41:                               ;   in Loop: Header=BB2_3 Depth=1
	s_and_saveexec_b64 s[38:39], s[34:35]
; %bb.42:                               ;   in Loop: Header=BB2_3 Depth=1
	ds_write_b64 v24, v[5:6]
; %bb.43:                               ;   in Loop: Header=BB2_3 Depth=1
	s_or_b64 exec, exec, s[38:39]
	s_waitcnt lgkmcnt(0)
	s_barrier
	s_and_saveexec_b64 s[50:51], s[36:37]
	s_cbranch_execz .LBB2_45
; %bb.44:                               ;   in Loop: Header=BB2_3 Depth=1
	ds_read_b64 v[5:6], v23
	s_waitcnt lgkmcnt(0)
	ds_bpermute_b32 v8, v13, v5
	ds_bpermute_b32 v7, v13, v6
	s_waitcnt lgkmcnt(1)
	v_cndmask_b32_e64 v8, v8, 0, vcc
	s_waitcnt lgkmcnt(0)
	v_cndmask_b32_e64 v7, v7, 0, vcc
	v_add_co_u32_e64 v5, s[38:39], v8, v5
	v_addc_co_u32_e64 v6, s[38:39], v7, v6, s[38:39]
	ds_bpermute_b32 v8, v14, v5
	ds_bpermute_b32 v7, v14, v6
	s_waitcnt lgkmcnt(1)
	v_cndmask_b32_e64 v8, v8, 0, s[22:23]
	s_waitcnt lgkmcnt(0)
	v_cndmask_b32_e64 v7, v7, 0, s[22:23]
	v_add_co_u32_e64 v5, s[38:39], v8, v5
	v_addc_co_u32_e64 v6, s[38:39], v7, v6, s[38:39]
	ds_bpermute_b32 v8, v15, v5
	ds_bpermute_b32 v7, v15, v6
	s_waitcnt lgkmcnt(1)
	v_cndmask_b32_e64 v8, v8, 0, s[24:25]
	s_waitcnt lgkmcnt(0)
	v_cndmask_b32_e64 v7, v7, 0, s[24:25]
	;; [unrolled: 8-line block ×5, first 2 shown]
	v_add_co_u32_e64 v5, s[38:39], v8, v5
	v_addc_co_u32_e64 v6, s[38:39], v7, v6, s[38:39]
	ds_write_b64 v23, v[5:6]
.LBB2_45:                               ;   in Loop: Header=BB2_3 Depth=1
	s_or_b64 exec, exec, s[50:51]
	s_waitcnt lgkmcnt(0)
	s_barrier
	s_and_saveexec_b64 s[50:51], s[18:19]
	s_cbranch_execnz .LBB2_47
; %bb.46:                               ;   in Loop: Header=BB2_3 Depth=1
	s_or_b64 exec, exec, s[50:51]
	v_cmp_gt_i32_e64 s[38:39], s47, v1
	s_and_saveexec_b64 s[50:51], s[38:39]
	s_cbranch_execz .LBB2_2
	s_branch .LBB2_48
.LBB2_47:                               ;   in Loop: Header=BB2_3 Depth=1
	ds_read_b64 v[5:6], v25
	s_waitcnt lgkmcnt(0)
	v_add_co_u32_e64 v3, s[38:39], v5, v3
	v_addc_co_u32_e64 v4, s[38:39], v6, v4, s[38:39]
	s_or_b64 exec, exec, s[50:51]
	v_cmp_gt_i32_e64 s[38:39], s47, v1
	s_and_saveexec_b64 s[50:51], s[38:39]
	s_cbranch_execz .LBB2_2
.LBB2_48:                               ;   in Loop: Header=BB2_3 Depth=1
	v_lshlrev_b64 v[1:2], 3, v[1:2]
	v_mov_b32_e32 v5, s41
	v_add_co_u32_e64 v1, s[38:39], s40, v1
	v_addc_co_u32_e64 v2, s[38:39], v5, v2, s[38:39]
	global_store_dwordx2 v[1:2], v[3:4], off
	s_branch .LBB2_2
.LBB2_49:
	s_endpgm
	.section	.rodata,"a",@progbits
	.p2align	6, 0x0
	.amdhsa_kernel _ZL13MPCdecompressILi64EEvPlS0_PVi
		.amdhsa_group_segment_fixed_size 16392
		.amdhsa_private_segment_fixed_size 0
		.amdhsa_kernarg_size 280
		.amdhsa_user_sgpr_count 6
		.amdhsa_user_sgpr_private_segment_buffer 1
		.amdhsa_user_sgpr_dispatch_ptr 0
		.amdhsa_user_sgpr_queue_ptr 0
		.amdhsa_user_sgpr_kernarg_segment_ptr 1
		.amdhsa_user_sgpr_dispatch_id 0
		.amdhsa_user_sgpr_flat_scratch_init 0
		.amdhsa_user_sgpr_private_segment_size 0
		.amdhsa_uses_dynamic_stack 0
		.amdhsa_system_sgpr_private_segment_wavefront_offset 0
		.amdhsa_system_sgpr_workgroup_id_x 1
		.amdhsa_system_sgpr_workgroup_id_y 0
		.amdhsa_system_sgpr_workgroup_id_z 0
		.amdhsa_system_sgpr_workgroup_info 0
		.amdhsa_system_vgpr_workitem_id 0
		.amdhsa_next_free_vgpr 31
		.amdhsa_next_free_sgpr 61
		.amdhsa_reserve_vcc 1
		.amdhsa_reserve_flat_scratch 0
		.amdhsa_float_round_mode_32 0
		.amdhsa_float_round_mode_16_64 0
		.amdhsa_float_denorm_mode_32 3
		.amdhsa_float_denorm_mode_16_64 3
		.amdhsa_dx10_clamp 1
		.amdhsa_ieee_mode 1
		.amdhsa_fp16_overflow 0
		.amdhsa_exception_fp_ieee_invalid_op 0
		.amdhsa_exception_fp_denorm_src 0
		.amdhsa_exception_fp_ieee_div_zero 0
		.amdhsa_exception_fp_ieee_overflow 0
		.amdhsa_exception_fp_ieee_underflow 0
		.amdhsa_exception_fp_ieee_inexact 0
		.amdhsa_exception_int_div_zero 0
	.end_amdhsa_kernel
	.section	.text._ZL13MPCdecompressILi64EEvPlS0_PVi,"axG",@progbits,_ZL13MPCdecompressILi64EEvPlS0_PVi,comdat
.Lfunc_end2:
	.size	_ZL13MPCdecompressILi64EEvPlS0_PVi, .Lfunc_end2-_ZL13MPCdecompressILi64EEvPlS0_PVi
                                        ; -- End function
	.set _ZL13MPCdecompressILi64EEvPlS0_PVi.num_vgpr, 31
	.set _ZL13MPCdecompressILi64EEvPlS0_PVi.num_agpr, 0
	.set _ZL13MPCdecompressILi64EEvPlS0_PVi.numbered_sgpr, 57
	.set _ZL13MPCdecompressILi64EEvPlS0_PVi.num_named_barrier, 0
	.set _ZL13MPCdecompressILi64EEvPlS0_PVi.private_seg_size, 0
	.set _ZL13MPCdecompressILi64EEvPlS0_PVi.uses_vcc, 1
	.set _ZL13MPCdecompressILi64EEvPlS0_PVi.uses_flat_scratch, 0
	.set _ZL13MPCdecompressILi64EEvPlS0_PVi.has_dyn_sized_stack, 0
	.set _ZL13MPCdecompressILi64EEvPlS0_PVi.has_recursion, 0
	.set _ZL13MPCdecompressILi64EEvPlS0_PVi.has_indirect_call, 0
	.section	.AMDGPU.csdata,"",@progbits
; Kernel info:
; codeLenInByte = 3288
; TotalNumSgprs: 61
; NumVgprs: 31
; ScratchSize: 0
; MemoryBound: 0
; FloatMode: 240
; IeeeMode: 1
; LDSByteSize: 16392 bytes/workgroup (compile time only)
; SGPRBlocks: 8
; VGPRBlocks: 7
; NumSGPRsForWavesPerEU: 65
; NumVGPRsForWavesPerEU: 31
; Occupancy: 8
; WaveLimiterHint : 0
; COMPUTE_PGM_RSRC2:SCRATCH_EN: 0
; COMPUTE_PGM_RSRC2:USER_SGPR: 6
; COMPUTE_PGM_RSRC2:TRAP_HANDLER: 0
; COMPUTE_PGM_RSRC2:TGID_X_EN: 1
; COMPUTE_PGM_RSRC2:TGID_Y_EN: 0
; COMPUTE_PGM_RSRC2:TGID_Z_EN: 0
; COMPUTE_PGM_RSRC2:TIDIG_COMP_CNT: 0
	.section	.text._ZL13MPCdecompressILi32EEvPlS0_PVi,"axG",@progbits,_ZL13MPCdecompressILi32EEvPlS0_PVi,comdat
	.globl	_ZL13MPCdecompressILi32EEvPlS0_PVi ; -- Begin function _ZL13MPCdecompressILi32EEvPlS0_PVi
	.p2align	8
	.type	_ZL13MPCdecompressILi32EEvPlS0_PVi,@function
_ZL13MPCdecompressILi32EEvPlS0_PVi:     ; @_ZL13MPCdecompressILi32EEvPlS0_PVi
; %bb.0:
	s_load_dwordx2 s[40:41], s[4:5], 0x0
	s_movk_i32 s7, 0x3ff
	s_waitcnt lgkmcnt(0)
	s_load_dwordx2 s[42:43], s[40:41], 0x0
	s_waitcnt lgkmcnt(0)
	s_add_i32 s0, s43, 0x3ff
	s_ashr_i32 s1, s0, 31
	s_lshr_b32 s1, s1, 22
	s_add_i32 s0, s0, s1
	s_ashr_i32 s33, s0, 10
	s_cmp_ge_i32 s6, s33
	s_cbranch_scc1 .LBB3_47
; %bb.1:
	s_add_i32 s0, s43, 63
	s_load_dwordx4 s[36:39], s[4:5], 0x8
	s_load_dword s52, s[4:5], 0x18
	s_ashr_i32 s1, s0, 31
	s_lshr_b32 s1, s1, 26
	s_add_i32 s0, s0, s1
	v_mbcnt_lo_u32_b32 v1, -1, 0
	s_ashr_i32 s53, s0, 6
	s_add_i32 s0, s43, -1
	v_mbcnt_hi_u32_b32 v10, -1, v1
	s_add_i32 s53, s53, 1
	s_or_b32 s54, s0, 63
	s_add_i32 s0, s6, 1
	v_and_b32_e32 v11, 64, v10
	v_add_u32_e32 v1, -1, v10
	s_waitcnt lgkmcnt(0)
	s_cmp_lg_u32 s0, s52
	v_cmp_lt_i32_e32 vcc, v1, v11
	s_cselect_b32 s22, s0, 0
	s_and_b32 s30, s42, 31
	v_cndmask_b32_e32 v1, v1, v10, vcc
	s_add_i32 s42, s30, 1
	v_lshlrev_b32_e32 v12, 2, v1
	v_add_u32_e32 v1, -2, v10
	v_cmp_lt_i32_e32 vcc, v1, v11
	v_cmp_eq_u32_e64 s[20:21], s7, v0
	s_ashr_i32 s7, s6, 31
	v_cvt_f32_ubyte0_e32 v4, s42
	v_cndmask_b32_e32 v1, v1, v10, vcc
	s_lshl_b64 s[24:25], s[6:7], 2
	v_cvt_f32_u32_e32 v3, v0
	v_rcp_iflag_f32_e32 v5, v4
	v_lshlrev_b32_e32 v13, 2, v1
	v_add_u32_e32 v1, -4, v10
	s_add_u32 s44, s38, s24
	v_cmp_lt_i32_e32 vcc, v1, v11
	s_addc_u32 s45, s39, s25
	s_ashr_i32 s23, s22, 31
	v_cndmask_b32_e32 v1, v1, v10, vcc
	s_lshl_b64 s[22:23], s[22:23], 2
	v_and_b32_e32 v9, 31, v0
	v_lshlrev_b32_e32 v14, 2, v1
	v_add_u32_e32 v1, -8, v10
	s_add_u32 s38, s38, s22
	v_mul_f32_e32 v5, v3, v5
	v_cmp_lt_i32_e32 vcc, v1, v11
	s_addc_u32 s39, s39, s23
	v_add_u32_e32 v6, s42, v9
	v_trunc_f32_e32 v5, v5
	v_cndmask_b32_e32 v1, v1, v10, vcc
	s_cmp_lg_u32 s30, 31
	v_cmp_lt_u32_e64 s[30:31], 31, v6
	v_cvt_u32_f32_e32 v6, v5
	v_lshlrev_b32_e32 v15, 2, v1
	v_add_u32_e32 v1, -16, v10
	v_cmp_lt_i32_e32 vcc, v1, v11
	v_mad_f32 v3, -v5, v4, v3
	v_cndmask_b32_e32 v1, v1, v10, vcc
	v_cmp_ge_f32_e64 vcc, |v3|, v4
	v_addc_co_u32_e32 v3, vcc, 0, v6, vcc
	v_mul_lo_u32 v3, v3, s42
	v_lshlrev_b32_e32 v16, 2, v1
	v_lshrrev_b32_e32 v1, 5, v0
	v_lshlrev_b32_e32 v17, 2, v1
	v_sub_u32_e32 v3, v0, v3
	v_and_b32_e32 v3, 0x3ff, v3
	v_cmp_gt_u32_e64 s[34:35], s42, v1
	v_lshlrev_b32_e32 v5, 3, v1
	v_mad_u32_u24 v1, v1, s42, v3
	v_lshlrev_b32_e32 v2, 3, v0
	v_lshlrev_b32_e32 v22, 3, v1
	v_subrev_u32_e32 v1, s42, v1
	v_lshlrev_b32_e32 v18, 2, v9
	v_mul_u32_u24_e32 v4, s42, v9
	v_lshlrev_b32_e32 v23, 3, v1
	v_and_b32_e32 v1, 0x1e00, v2
	v_and_b32_e32 v7, 63, v0
	v_mov_b32_e32 v8, 0
	v_cmp_eq_u32_e64 s[0:1], 0, v9
	v_cmp_ne_u32_e64 s[2:3], 0, v9
	v_cmp_lt_u32_e64 s[4:5], 1, v9
	v_cmp_lt_u32_e64 s[8:9], 3, v9
	v_cmp_lt_u32_e64 s[10:11], 7, v9
	v_cmp_lt_u32_e64 s[12:13], 15, v9
	v_cmp_eq_u32_e64 s[14:15], 31, v9
	v_cmp_gt_u32_e64 s[16:17], 32, v0
	v_cmp_lt_u32_e64 s[18:19], 31, v0
	v_or_b32_e32 v19, 0x2000, v2
	v_cmp_gt_u32_e64 s[22:23], 2, v9
	v_cmp_gt_u32_e64 s[24:25], 4, v9
	v_cmp_gt_u32_e64 s[26:27], 8, v9
	v_cmp_gt_u32_e64 s[28:29], 16, v9
	v_add_u32_e32 v20, v17, v17
	s_cselect_b64 s[46:47], -1, 0
	v_lshl_add_u32 v21, v4, 3, v5
	v_or_b32_e32 v24, 0x21c0, v1
	v_mov_b32_e32 v25, -1
	v_add_u32_e32 v26, v18, v18
	s_branch .LBB3_3
.LBB3_2:                                ;   in Loop: Header=BB3_3 Depth=1
	s_or_b64 exec, exec, s[48:49]
	s_add_i32 s6, s6, s52
	s_cmp_ge_i32 s6, s33
	s_cbranch_scc1 .LBB3_47
.LBB3_3:                                ; =>This Loop Header: Depth=1
                                        ;     Child Loop BB3_14 Depth 2
                                        ;     Child Loop BB3_36 Depth 2
	;; [unrolled: 1-line block ×3, first 2 shown]
	v_lshl_or_b32 v1, s6, 10, v0
	v_cmp_ge_i32_e32 vcc, s54, v1
	v_ashrrev_i32_e32 v2, 31, v1
	v_mov_b32_e32 v27, 0
	s_and_saveexec_b64 s[48:49], vcc
	s_cbranch_execz .LBB3_5
; %bb.4:                                ;   in Loop: Header=BB3_3 Depth=1
	v_lshrrev_b32_e32 v3, 26, v2
	v_add_u32_e32 v3, v1, v3
	v_ashrrev_i32_e32 v3, 6, v3
	v_ashrrev_i32_e32 v4, 31, v3
	v_lshlrev_b64 v[3:4], 3, v[3:4]
	v_mov_b32_e32 v5, s41
	v_add_co_u32_e32 v3, vcc, s40, v3
	v_addc_co_u32_e32 v4, vcc, v5, v4, vcc
	global_load_dwordx2 v[3:4], v[3:4], off offset:8
	s_waitcnt vmcnt(0)
	v_lshrrev_b64 v[3:4], v7, v[3:4]
	v_and_b32_e32 v27, 1, v3
.LBB3_5:                                ;   in Loop: Header=BB3_3 Depth=1
	s_or_b64 exec, exec, s[48:49]
	ds_bpermute_b32 v3, v12, v27
	s_waitcnt vmcnt(0) lgkmcnt(0)
	s_barrier
	v_cndmask_b32_e64 v3, v3, 0, s[0:1]
	v_add_u32_e32 v3, v3, v27
	ds_bpermute_b32 v4, v13, v3
	s_waitcnt lgkmcnt(0)
	v_cndmask_b32_e64 v4, 0, v4, s[4:5]
	v_add_u32_e32 v3, v3, v4
	ds_bpermute_b32 v4, v14, v3
	s_waitcnt lgkmcnt(0)
	;; [unrolled: 4-line block ×4, first 2 shown]
	v_cndmask_b32_e64 v4, 0, v4, s[12:13]
	v_add_u32_e32 v3, v3, v4
	s_and_saveexec_b64 s[48:49], s[14:15]
; %bb.6:                                ;   in Loop: Header=BB3_3 Depth=1
	ds_write_b32 v17, v3
; %bb.7:                                ;   in Loop: Header=BB3_3 Depth=1
	s_or_b64 exec, exec, s[48:49]
	s_waitcnt lgkmcnt(0)
	s_barrier
	s_and_saveexec_b64 s[48:49], s[16:17]
	s_cbranch_execz .LBB3_9
; %bb.8:                                ;   in Loop: Header=BB3_3 Depth=1
	ds_read_b32 v4, v18
	s_waitcnt lgkmcnt(0)
	ds_bpermute_b32 v5, v12, v4
	s_waitcnt lgkmcnt(0)
	v_cndmask_b32_e64 v5, v5, 0, s[0:1]
	v_add_u32_e32 v4, v5, v4
	ds_bpermute_b32 v5, v13, v4
	s_waitcnt lgkmcnt(0)
	v_cndmask_b32_e64 v5, 0, v5, s[4:5]
	v_add_u32_e32 v4, v5, v4
	;; [unrolled: 4-line block ×5, first 2 shown]
	ds_write_b32 v18, v4
.LBB3_9:                                ;   in Loop: Header=BB3_3 Depth=1
	s_or_b64 exec, exec, s[48:49]
	v_cndmask_b32_e64 v5, v3, v27, s[0:1]
	s_waitcnt lgkmcnt(0)
	s_barrier
	s_and_saveexec_b64 s[48:49], s[18:19]
	s_cbranch_execz .LBB3_11
; %bb.10:                               ;   in Loop: Header=BB3_3 Depth=1
	v_add_u32_e32 v3, -4, v17
	ds_read_b32 v3, v3
	s_waitcnt lgkmcnt(0)
	v_add_u32_e32 v5, v3, v5
.LBB3_11:                               ;   in Loop: Header=BB3_3 Depth=1
	s_or_b64 exec, exec, s[48:49]
	s_and_saveexec_b64 s[48:49], s[20:21]
	s_cbranch_execz .LBB3_17
; %bb.12:                               ;   in Loop: Header=BB3_3 Depth=1
	s_cmp_lt_i32 s6, 1
	v_mov_b32_e32 v6, s53
	s_cbranch_scc1 .LBB3_16
; %bb.13:                               ;   in Loop: Header=BB3_3 Depth=1
	s_mov_b64 s[50:51], 0
.LBB3_14:                               ;   Parent Loop BB3_3 Depth=1
                                        ; =>  This Inner Loop Header: Depth=2
	v_mov_b32_e32 v3, s44
	v_mov_b32_e32 v4, s45
	flat_load_dword v6, v[3:4] glc
	s_waitcnt vmcnt(0) lgkmcnt(0)
	v_cmp_lt_i32_e32 vcc, -1, v6
	s_or_b64 s[50:51], vcc, s[50:51]
	s_andn2_b64 exec, exec, s[50:51]
	s_cbranch_execnz .LBB3_14
; %bb.15:                               ;   in Loop: Header=BB3_3 Depth=1
	s_or_b64 exec, exec, s[50:51]
.LBB3_16:                               ;   in Loop: Header=BB3_3 Depth=1
	v_mov_b32_e32 v3, s38
	v_add_u32_e32 v28, v6, v5
	v_mov_b32_e32 v4, s39
	flat_store_dword v[3:4], v28
	s_waitcnt vmcnt(0)
	v_mov_b32_e32 v3, s44
	v_mov_b32_e32 v4, s45
	flat_store_dword v[3:4], v25
	s_waitcnt vmcnt(0)
	ds_write_b64 v8, v[5:6] offset:16384
.LBB3_17:                               ;   in Loop: Header=BB3_3 Depth=1
	s_or_b64 exec, exec, s[48:49]
	s_waitcnt lgkmcnt(0)
	s_barrier
	ds_read_b32 v3, v8 offset:16384
	s_waitcnt lgkmcnt(0)
	v_cmp_lt_i32_e32 vcc, v0, v3
	s_and_saveexec_b64 s[48:49], vcc
	s_cbranch_execz .LBB3_19
; %bb.18:                               ;   in Loop: Header=BB3_3 Depth=1
	ds_read_b32 v3, v8 offset:16388
	v_mov_b32_e32 v6, s41
	s_waitcnt lgkmcnt(0)
	v_add_u32_e32 v3, v3, v0
	v_ashrrev_i32_e32 v4, 31, v3
	v_lshlrev_b64 v[3:4], 3, v[3:4]
	v_add_co_u32_e32 v3, vcc, s40, v3
	v_addc_co_u32_e32 v4, vcc, v6, v4, vcc
	global_load_dwordx2 v[3:4], v[3:4], off
	s_waitcnt vmcnt(0)
	ds_write_b64 v19, v[3:4]
.LBB3_19:                               ;   in Loop: Header=BB3_3 Depth=1
	s_or_b64 exec, exec, s[48:49]
	v_mov_b32_e32 v3, 0
	v_mov_b32_e32 v4, 0
	v_cmp_ne_u32_e32 vcc, 0, v27
	s_waitcnt lgkmcnt(0)
	s_barrier
	s_and_saveexec_b64 s[48:49], vcc
; %bb.20:                               ;   in Loop: Header=BB3_3 Depth=1
	v_lshlrev_b32_e32 v3, 3, v5
	ds_read_b64 v[3:4], v3 offset:8184
; %bb.21:                               ;   in Loop: Header=BB3_3 Depth=1
	s_or_b64 exec, exec, s[48:49]
	s_waitcnt lgkmcnt(0)
	ds_bpermute_b32 v27, v12, v3
	ds_bpermute_b32 v6, v12, v4
	v_mov_b32_e32 v5, v3
	s_and_saveexec_b64 s[48:49], s[2:3]
	s_cbranch_execz .LBB3_23
; %bb.22:                               ;   in Loop: Header=BB3_3 Depth=1
	s_waitcnt lgkmcnt(1)
	v_add_co_u32_e32 v5, vcc, v3, v27
	v_addc_co_u32_e32 v4, vcc, 0, v4, vcc
	v_add_co_u32_e32 v3, vcc, 0, v5
	s_waitcnt lgkmcnt(0)
	v_addc_co_u32_e32 v4, vcc, v6, v4, vcc
.LBB3_23:                               ;   in Loop: Header=BB3_3 Depth=1
	s_or_b64 exec, exec, s[48:49]
	s_waitcnt lgkmcnt(1)
	ds_bpermute_b32 v27, v13, v5
	s_waitcnt lgkmcnt(1)
	ds_bpermute_b32 v6, v13, v4
	s_and_saveexec_b64 s[48:49], s[4:5]
	s_cbranch_execz .LBB3_25
; %bb.24:                               ;   in Loop: Header=BB3_3 Depth=1
	s_waitcnt lgkmcnt(1)
	v_add_co_u32_e32 v5, vcc, v3, v27
	v_addc_co_u32_e32 v4, vcc, 0, v4, vcc
	v_add_co_u32_e32 v3, vcc, 0, v5
	s_waitcnt lgkmcnt(0)
	v_addc_co_u32_e32 v4, vcc, v6, v4, vcc
.LBB3_25:                               ;   in Loop: Header=BB3_3 Depth=1
	s_or_b64 exec, exec, s[48:49]
	s_waitcnt lgkmcnt(1)
	ds_bpermute_b32 v27, v14, v5
	s_waitcnt lgkmcnt(1)
	ds_bpermute_b32 v6, v14, v4
	;; [unrolled: 15-line block ×3, first 2 shown]
	s_and_saveexec_b64 s[48:49], s[10:11]
	s_cbranch_execz .LBB3_29
; %bb.28:                               ;   in Loop: Header=BB3_3 Depth=1
	s_waitcnt lgkmcnt(1)
	v_add_co_u32_e32 v5, vcc, v3, v27
	v_addc_co_u32_e32 v4, vcc, 0, v4, vcc
	v_add_co_u32_e32 v3, vcc, 0, v5
	s_waitcnt lgkmcnt(0)
	v_addc_co_u32_e32 v4, vcc, v6, v4, vcc
.LBB3_29:                               ;   in Loop: Header=BB3_3 Depth=1
	s_or_b64 exec, exec, s[48:49]
	ds_bpermute_b32 v5, v16, v5
	s_waitcnt lgkmcnt(1)
	ds_bpermute_b32 v6, v16, v4
	s_waitcnt lgkmcnt(1)
	v_add_co_u32_e32 v5, vcc, v3, v5
	v_addc_co_u32_e32 v27, vcc, 0, v4, vcc
	v_add_co_u32_e32 v5, vcc, 0, v5
	s_waitcnt lgkmcnt(0)
	v_addc_co_u32_e32 v6, vcc, v27, v6, vcc
	s_and_saveexec_b64 s[48:49], s[14:15]
; %bb.30:                               ;   in Loop: Header=BB3_3 Depth=1
	ds_write_b64 v20, v[5:6]
; %bb.31:                               ;   in Loop: Header=BB3_3 Depth=1
	s_or_b64 exec, exec, s[48:49]
	s_waitcnt lgkmcnt(0)
	s_barrier
	s_and_saveexec_b64 s[48:49], s[16:17]
	s_cbranch_execz .LBB3_33
; %bb.32:                               ;   in Loop: Header=BB3_3 Depth=1
	ds_read_b64 v[27:28], v26
	s_waitcnt lgkmcnt(0)
	ds_bpermute_b32 v30, v12, v27
	ds_bpermute_b32 v29, v12, v28
	s_waitcnt lgkmcnt(1)
	v_cndmask_b32_e64 v30, v30, 0, s[0:1]
	s_waitcnt lgkmcnt(0)
	v_cndmask_b32_e64 v29, v29, 0, s[0:1]
	v_add_co_u32_e32 v27, vcc, v30, v27
	v_addc_co_u32_e32 v28, vcc, v29, v28, vcc
	ds_bpermute_b32 v30, v13, v27
	ds_bpermute_b32 v29, v13, v28
	s_waitcnt lgkmcnt(1)
	v_cndmask_b32_e64 v30, v30, 0, s[22:23]
	s_waitcnt lgkmcnt(0)
	v_cndmask_b32_e64 v29, v29, 0, s[22:23]
	v_add_co_u32_e32 v27, vcc, v30, v27
	v_addc_co_u32_e32 v28, vcc, v29, v28, vcc
	;; [unrolled: 8-line block ×5, first 2 shown]
	ds_write_b64 v26, v[27:28]
.LBB3_33:                               ;   in Loop: Header=BB3_3 Depth=1
	s_or_b64 exec, exec, s[48:49]
	v_cndmask_b32_e64 v4, v6, v4, s[28:29]
	v_cndmask_b32_e64 v3, v5, v3, s[28:29]
	s_waitcnt lgkmcnt(0)
	s_barrier
	s_and_saveexec_b64 s[48:49], s[18:19]
	s_cbranch_execz .LBB3_35
; %bb.34:                               ;   in Loop: Header=BB3_3 Depth=1
	v_add_u32_e32 v5, -8, v20
	ds_read_b64 v[5:6], v5
	s_waitcnt lgkmcnt(0)
	v_add_co_u32_e32 v3, vcc, v5, v3
	v_addc_co_u32_e32 v4, vcc, v6, v4, vcc
.LBB3_35:                               ;   in Loop: Header=BB3_3 Depth=1
	s_or_b64 exec, exec, s[48:49]
	ds_write_b64 v19, v[3:4]
	v_mov_b32_e32 v3, 0
	v_mov_b32_e32 v4, 0
	s_mov_b32 s7, 0
	s_waitcnt lgkmcnt(0)
	s_barrier
.LBB3_36:                               ;   Parent Loop BB3_3 Depth=1
                                        ; =>  This Inner Loop Header: Depth=2
	v_add_u32_e32 v33, s7, v24
	ds_read2_b64 v[27:30], v33 offset0:6 offset1:7
	s_sub_i32 s7, s7, 64
	s_cmpk_eq_i32 s7, 0xfe00
	s_waitcnt lgkmcnt(0)
	v_lshrrev_b64 v[5:6], v7, v[29:30]
	v_lshlrev_b64 v[29:30], 2, v[3:4]
	v_lshlrev_b32_e32 v3, 1, v5
	v_and_or_b32 v5, v3, 2, v29
	v_lshrrev_b64 v[3:4], v7, v[27:28]
	v_and_b32_e32 v3, 1, v3
	v_or_b32_e32 v29, v3, v5
	ds_read2_b64 v[3:6], v33 offset0:4 offset1:5
	v_lshlrev_b64 v[27:28], 2, v[29:30]
	s_waitcnt lgkmcnt(0)
	v_lshrrev_b64 v[5:6], v7, v[5:6]
	v_lshrrev_b64 v[3:4], v7, v[3:4]
	v_lshlrev_b32_e32 v5, 1, v5
	v_and_or_b32 v5, v5, 2, v27
	v_and_b32_e32 v3, 1, v3
	v_or_b32_e32 v27, v3, v5
	ds_read2_b64 v[3:6], v33 offset0:2 offset1:3
	v_lshlrev_b64 v[31:32], 2, v[27:28]
	ds_read2_b64 v[27:30], v33 offset1:1
	s_waitcnt lgkmcnt(1)
	v_lshrrev_b64 v[5:6], v7, v[5:6]
	v_lshrrev_b64 v[3:4], v7, v[3:4]
	v_lshlrev_b32_e32 v5, 1, v5
	v_and_or_b32 v5, v5, 2, v31
	v_and_b32_e32 v3, 1, v3
	v_or_b32_e32 v31, v3, v5
	s_waitcnt lgkmcnt(0)
	v_lshrrev_b64 v[5:6], v7, v[29:30]
	v_lshlrev_b64 v[3:4], 2, v[31:32]
	v_lshlrev_b32_e32 v5, 1, v5
	v_and_or_b32 v3, v5, 2, v3
	v_lshrrev_b64 v[5:6], v7, v[27:28]
	v_and_b32_e32 v5, 1, v5
	v_or_b32_e32 v3, v5, v3
	s_cbranch_scc0 .LBB3_36
; %bb.37:                               ;   in Loop: Header=BB3_3 Depth=1
	v_mov_b32_e32 v6, v4
	s_andn2_b64 vcc, exec, s[46:47]
	s_mov_b32 s7, s42
	v_mov_b32_e32 v5, v3
	s_cbranch_vccnz .LBB3_39
.LBB3_38:                               ;   Parent Loop BB3_3 Depth=1
                                        ; =>  This Inner Loop Header: Depth=2
	v_subrev_u32_e32 v27, s7, v10
	v_cmp_lt_i32_e32 vcc, v27, v11
	v_cndmask_b32_e32 v27, v27, v10, vcc
	v_lshlrev_b32_e32 v27, 2, v27
	ds_bpermute_b32 v28, v27, v5
	ds_bpermute_b32 v27, v27, v6
	s_lshl_b32 s48, s7, 1
	s_cmp_gt_u32 s7, 15
	s_waitcnt lgkmcnt(1)
	v_add_co_u32_e32 v28, vcc, v5, v28
	v_addc_co_u32_e32 v29, vcc, 0, v6, vcc
	v_add_co_u32_e32 v28, vcc, 0, v28
	s_waitcnt lgkmcnt(0)
	v_addc_co_u32_e32 v27, vcc, v29, v27, vcc
	v_cmp_gt_u32_e32 vcc, s7, v9
	v_cndmask_b32_e32 v4, v27, v4, vcc
	v_cndmask_b32_e32 v3, v28, v3, vcc
	;; [unrolled: 1-line block ×4, first 2 shown]
	s_mov_b32 s7, s48
	s_cbranch_scc0 .LBB3_38
.LBB3_39:                               ;   in Loop: Header=BB3_3 Depth=1
	s_and_saveexec_b64 s[48:49], s[30:31]
; %bb.40:                               ;   in Loop: Header=BB3_3 Depth=1
	ds_write_b64 v22, v[3:4]
; %bb.41:                               ;   in Loop: Header=BB3_3 Depth=1
	s_or_b64 exec, exec, s[48:49]
	s_waitcnt lgkmcnt(0)
	s_barrier
	s_and_saveexec_b64 s[48:49], s[34:35]
	s_cbranch_execz .LBB3_43
; %bb.42:                               ;   in Loop: Header=BB3_3 Depth=1
	ds_read_b64 v[5:6], v21
	s_waitcnt lgkmcnt(0)
	ds_bpermute_b32 v28, v12, v5
	ds_bpermute_b32 v27, v12, v6
	s_waitcnt lgkmcnt(1)
	v_cndmask_b32_e64 v28, v28, 0, s[0:1]
	s_waitcnt lgkmcnt(0)
	v_cndmask_b32_e64 v27, v27, 0, s[0:1]
	v_add_co_u32_e32 v5, vcc, v28, v5
	v_addc_co_u32_e32 v6, vcc, v27, v6, vcc
	ds_bpermute_b32 v28, v13, v5
	ds_bpermute_b32 v27, v13, v6
	s_waitcnt lgkmcnt(1)
	v_cndmask_b32_e64 v28, v28, 0, s[22:23]
	s_waitcnt lgkmcnt(0)
	v_cndmask_b32_e64 v27, v27, 0, s[22:23]
	v_add_co_u32_e32 v5, vcc, v28, v5
	v_addc_co_u32_e32 v6, vcc, v27, v6, vcc
	;; [unrolled: 8-line block ×5, first 2 shown]
	ds_write_b64 v21, v[5:6]
.LBB3_43:                               ;   in Loop: Header=BB3_3 Depth=1
	s_or_b64 exec, exec, s[48:49]
	s_waitcnt lgkmcnt(0)
	s_barrier
	s_and_saveexec_b64 s[48:49], s[18:19]
	s_cbranch_execnz .LBB3_45
; %bb.44:                               ;   in Loop: Header=BB3_3 Depth=1
	s_or_b64 exec, exec, s[48:49]
	v_cmp_gt_i32_e32 vcc, s43, v1
	s_and_saveexec_b64 s[48:49], vcc
	s_cbranch_execz .LBB3_2
	s_branch .LBB3_46
.LBB3_45:                               ;   in Loop: Header=BB3_3 Depth=1
	ds_read_b64 v[5:6], v23
	s_waitcnt lgkmcnt(0)
	v_add_co_u32_e32 v3, vcc, v5, v3
	v_addc_co_u32_e32 v4, vcc, v6, v4, vcc
	s_or_b64 exec, exec, s[48:49]
	v_cmp_gt_i32_e32 vcc, s43, v1
	s_and_saveexec_b64 s[48:49], vcc
	s_cbranch_execz .LBB3_2
.LBB3_46:                               ;   in Loop: Header=BB3_3 Depth=1
	v_lshlrev_b64 v[1:2], 3, v[1:2]
	v_mov_b32_e32 v5, s37
	v_add_co_u32_e32 v1, vcc, s36, v1
	v_addc_co_u32_e32 v2, vcc, v5, v2, vcc
	global_store_dwordx2 v[1:2], v[3:4], off
	s_branch .LBB3_2
.LBB3_47:
	s_endpgm
	.section	.rodata,"a",@progbits
	.p2align	6, 0x0
	.amdhsa_kernel _ZL13MPCdecompressILi32EEvPlS0_PVi
		.amdhsa_group_segment_fixed_size 16392
		.amdhsa_private_segment_fixed_size 0
		.amdhsa_kernarg_size 280
		.amdhsa_user_sgpr_count 6
		.amdhsa_user_sgpr_private_segment_buffer 1
		.amdhsa_user_sgpr_dispatch_ptr 0
		.amdhsa_user_sgpr_queue_ptr 0
		.amdhsa_user_sgpr_kernarg_segment_ptr 1
		.amdhsa_user_sgpr_dispatch_id 0
		.amdhsa_user_sgpr_flat_scratch_init 0
		.amdhsa_user_sgpr_private_segment_size 0
		.amdhsa_uses_dynamic_stack 0
		.amdhsa_system_sgpr_private_segment_wavefront_offset 0
		.amdhsa_system_sgpr_workgroup_id_x 1
		.amdhsa_system_sgpr_workgroup_id_y 0
		.amdhsa_system_sgpr_workgroup_id_z 0
		.amdhsa_system_sgpr_workgroup_info 0
		.amdhsa_system_vgpr_workitem_id 0
		.amdhsa_next_free_vgpr 34
		.amdhsa_next_free_sgpr 61
		.amdhsa_reserve_vcc 1
		.amdhsa_reserve_flat_scratch 0
		.amdhsa_float_round_mode_32 0
		.amdhsa_float_round_mode_16_64 0
		.amdhsa_float_denorm_mode_32 3
		.amdhsa_float_denorm_mode_16_64 3
		.amdhsa_dx10_clamp 1
		.amdhsa_ieee_mode 1
		.amdhsa_fp16_overflow 0
		.amdhsa_exception_fp_ieee_invalid_op 0
		.amdhsa_exception_fp_denorm_src 0
		.amdhsa_exception_fp_ieee_div_zero 0
		.amdhsa_exception_fp_ieee_overflow 0
		.amdhsa_exception_fp_ieee_underflow 0
		.amdhsa_exception_fp_ieee_inexact 0
		.amdhsa_exception_int_div_zero 0
	.end_amdhsa_kernel
	.section	.text._ZL13MPCdecompressILi32EEvPlS0_PVi,"axG",@progbits,_ZL13MPCdecompressILi32EEvPlS0_PVi,comdat
.Lfunc_end3:
	.size	_ZL13MPCdecompressILi32EEvPlS0_PVi, .Lfunc_end3-_ZL13MPCdecompressILi32EEvPlS0_PVi
                                        ; -- End function
	.set _ZL13MPCdecompressILi32EEvPlS0_PVi.num_vgpr, 34
	.set _ZL13MPCdecompressILi32EEvPlS0_PVi.num_agpr, 0
	.set _ZL13MPCdecompressILi32EEvPlS0_PVi.numbered_sgpr, 55
	.set _ZL13MPCdecompressILi32EEvPlS0_PVi.num_named_barrier, 0
	.set _ZL13MPCdecompressILi32EEvPlS0_PVi.private_seg_size, 0
	.set _ZL13MPCdecompressILi32EEvPlS0_PVi.uses_vcc, 1
	.set _ZL13MPCdecompressILi32EEvPlS0_PVi.uses_flat_scratch, 0
	.set _ZL13MPCdecompressILi32EEvPlS0_PVi.has_dyn_sized_stack, 0
	.set _ZL13MPCdecompressILi32EEvPlS0_PVi.has_recursion, 0
	.set _ZL13MPCdecompressILi32EEvPlS0_PVi.has_indirect_call, 0
	.section	.AMDGPU.csdata,"",@progbits
; Kernel info:
; codeLenInByte = 2708
; TotalNumSgprs: 59
; NumVgprs: 34
; ScratchSize: 0
; MemoryBound: 0
; FloatMode: 240
; IeeeMode: 1
; LDSByteSize: 16392 bytes/workgroup (compile time only)
; SGPRBlocks: 8
; VGPRBlocks: 8
; NumSGPRsForWavesPerEU: 65
; NumVGPRsForWavesPerEU: 34
; Occupancy: 7
; WaveLimiterHint : 0
; COMPUTE_PGM_RSRC2:SCRATCH_EN: 0
; COMPUTE_PGM_RSRC2:USER_SGPR: 6
; COMPUTE_PGM_RSRC2:TRAP_HANDLER: 0
; COMPUTE_PGM_RSRC2:TGID_X_EN: 1
; COMPUTE_PGM_RSRC2:TGID_Y_EN: 0
; COMPUTE_PGM_RSRC2:TGID_Z_EN: 0
; COMPUTE_PGM_RSRC2:TIDIG_COMP_CNT: 0
	.section	.AMDGPU.gpr_maximums,"",@progbits
	.set amdgpu.max_num_vgpr, 0
	.set amdgpu.max_num_agpr, 0
	.set amdgpu.max_num_sgpr, 0
	.section	.AMDGPU.csdata,"",@progbits
	.type	__hip_cuid_f64085be3b1554d9,@object ; @__hip_cuid_f64085be3b1554d9
	.section	.bss,"aw",@nobits
	.globl	__hip_cuid_f64085be3b1554d9
__hip_cuid_f64085be3b1554d9:
	.byte	0                               ; 0x0
	.size	__hip_cuid_f64085be3b1554d9, 1

	.ident	"AMD clang version 22.0.0git (https://github.com/RadeonOpenCompute/llvm-project roc-7.2.4 26084 f58b06dce1f9c15707c5f808fd002e18c2accf7e)"
	.section	".note.GNU-stack","",@progbits
	.addrsig
	.addrsig_sym __hip_cuid_f64085be3b1554d9
	.amdgpu_metadata
---
amdhsa.kernels:
  - .args:
      - .offset:         0
        .size:           4
        .value_kind:     by_value
      - .actual_access:  read_only
        .address_space:  global
        .offset:         8
        .size:           8
        .value_kind:     global_buffer
      - .actual_access:  write_only
        .address_space:  global
        .offset:         16
        .size:           8
        .value_kind:     global_buffer
      - .address_space:  global
        .offset:         24
        .size:           8
        .value_kind:     global_buffer
      - .offset:         32
        .size:           1
        .value_kind:     by_value
      - .offset:         40
        .size:           4
        .value_kind:     hidden_block_count_x
      - .offset:         44
        .size:           4
        .value_kind:     hidden_block_count_y
      - .offset:         48
        .size:           4
        .value_kind:     hidden_block_count_z
      - .offset:         52
        .size:           2
        .value_kind:     hidden_group_size_x
      - .offset:         54
        .size:           2
        .value_kind:     hidden_group_size_y
      - .offset:         56
        .size:           2
        .value_kind:     hidden_group_size_z
      - .offset:         58
        .size:           2
        .value_kind:     hidden_remainder_x
      - .offset:         60
        .size:           2
        .value_kind:     hidden_remainder_y
      - .offset:         62
        .size:           2
        .value_kind:     hidden_remainder_z
      - .offset:         80
        .size:           8
        .value_kind:     hidden_global_offset_x
      - .offset:         88
        .size:           8
        .value_kind:     hidden_global_offset_y
      - .offset:         96
        .size:           8
        .value_kind:     hidden_global_offset_z
      - .offset:         104
        .size:           2
        .value_kind:     hidden_grid_dims
    .group_segment_fixed_size: 16392
    .kernarg_segment_align: 8
    .kernarg_segment_size: 296
    .language:       OpenCL C
    .language_version:
      - 2
      - 0
    .max_flat_workgroup_size: 1024
    .name:           _ZL11MPCcompressILi64EEviPlS0_PVih
    .private_segment_fixed_size: 0
    .sgpr_count:     50
    .sgpr_spill_count: 0
    .symbol:         _ZL11MPCcompressILi64EEviPlS0_PVih.kd
    .uniform_work_group_size: 1
    .uses_dynamic_stack: false
    .vgpr_count:     27
    .vgpr_spill_count: 0
    .wavefront_size: 64
  - .args:
      - .offset:         0
        .size:           4
        .value_kind:     by_value
      - .actual_access:  read_only
        .address_space:  global
        .offset:         8
        .size:           8
        .value_kind:     global_buffer
      - .actual_access:  write_only
        .address_space:  global
        .offset:         16
        .size:           8
        .value_kind:     global_buffer
      - .address_space:  global
        .offset:         24
        .size:           8
        .value_kind:     global_buffer
      - .offset:         32
        .size:           1
        .value_kind:     by_value
      - .offset:         40
        .size:           4
        .value_kind:     hidden_block_count_x
      - .offset:         44
        .size:           4
        .value_kind:     hidden_block_count_y
      - .offset:         48
        .size:           4
        .value_kind:     hidden_block_count_z
      - .offset:         52
        .size:           2
        .value_kind:     hidden_group_size_x
      - .offset:         54
        .size:           2
        .value_kind:     hidden_group_size_y
      - .offset:         56
        .size:           2
        .value_kind:     hidden_group_size_z
      - .offset:         58
        .size:           2
        .value_kind:     hidden_remainder_x
      - .offset:         60
        .size:           2
        .value_kind:     hidden_remainder_y
      - .offset:         62
        .size:           2
        .value_kind:     hidden_remainder_z
      - .offset:         80
        .size:           8
        .value_kind:     hidden_global_offset_x
      - .offset:         88
        .size:           8
        .value_kind:     hidden_global_offset_y
      - .offset:         96
        .size:           8
        .value_kind:     hidden_global_offset_z
      - .offset:         104
        .size:           2
        .value_kind:     hidden_grid_dims
    .group_segment_fixed_size: 16392
    .kernarg_segment_align: 8
    .kernarg_segment_size: 296
    .language:       OpenCL C
    .language_version:
      - 2
      - 0
    .max_flat_workgroup_size: 1024
    .name:           _ZL11MPCcompressILi32EEviPlS0_PVih
    .private_segment_fixed_size: 0
    .sgpr_count:     50
    .sgpr_spill_count: 0
    .symbol:         _ZL11MPCcompressILi32EEviPlS0_PVih.kd
    .uniform_work_group_size: 1
    .uses_dynamic_stack: false
    .vgpr_count:     25
    .vgpr_spill_count: 0
    .wavefront_size: 64
  - .args:
      - .actual_access:  read_only
        .address_space:  global
        .offset:         0
        .size:           8
        .value_kind:     global_buffer
      - .actual_access:  write_only
        .address_space:  global
        .offset:         8
        .size:           8
        .value_kind:     global_buffer
      - .address_space:  global
        .offset:         16
        .size:           8
        .value_kind:     global_buffer
      - .offset:         24
        .size:           4
        .value_kind:     hidden_block_count_x
      - .offset:         28
        .size:           4
        .value_kind:     hidden_block_count_y
      - .offset:         32
        .size:           4
        .value_kind:     hidden_block_count_z
      - .offset:         36
        .size:           2
        .value_kind:     hidden_group_size_x
      - .offset:         38
        .size:           2
        .value_kind:     hidden_group_size_y
      - .offset:         40
        .size:           2
        .value_kind:     hidden_group_size_z
      - .offset:         42
        .size:           2
        .value_kind:     hidden_remainder_x
      - .offset:         44
        .size:           2
        .value_kind:     hidden_remainder_y
      - .offset:         46
        .size:           2
        .value_kind:     hidden_remainder_z
      - .offset:         64
        .size:           8
        .value_kind:     hidden_global_offset_x
      - .offset:         72
        .size:           8
        .value_kind:     hidden_global_offset_y
      - .offset:         80
        .size:           8
        .value_kind:     hidden_global_offset_z
      - .offset:         88
        .size:           2
        .value_kind:     hidden_grid_dims
    .group_segment_fixed_size: 16392
    .kernarg_segment_align: 8
    .kernarg_segment_size: 280
    .language:       OpenCL C
    .language_version:
      - 2
      - 0
    .max_flat_workgroup_size: 1024
    .name:           _ZL13MPCdecompressILi64EEvPlS0_PVi
    .private_segment_fixed_size: 0
    .sgpr_count:     61
    .sgpr_spill_count: 0
    .symbol:         _ZL13MPCdecompressILi64EEvPlS0_PVi.kd
    .uniform_work_group_size: 1
    .uses_dynamic_stack: false
    .vgpr_count:     31
    .vgpr_spill_count: 0
    .wavefront_size: 64
  - .args:
      - .actual_access:  read_only
        .address_space:  global
        .offset:         0
        .size:           8
        .value_kind:     global_buffer
      - .actual_access:  write_only
        .address_space:  global
        .offset:         8
        .size:           8
        .value_kind:     global_buffer
      - .address_space:  global
        .offset:         16
        .size:           8
        .value_kind:     global_buffer
      - .offset:         24
        .size:           4
        .value_kind:     hidden_block_count_x
      - .offset:         28
        .size:           4
        .value_kind:     hidden_block_count_y
      - .offset:         32
        .size:           4
        .value_kind:     hidden_block_count_z
      - .offset:         36
        .size:           2
        .value_kind:     hidden_group_size_x
      - .offset:         38
        .size:           2
        .value_kind:     hidden_group_size_y
      - .offset:         40
        .size:           2
        .value_kind:     hidden_group_size_z
      - .offset:         42
        .size:           2
        .value_kind:     hidden_remainder_x
      - .offset:         44
        .size:           2
        .value_kind:     hidden_remainder_y
      - .offset:         46
        .size:           2
        .value_kind:     hidden_remainder_z
      - .offset:         64
        .size:           8
        .value_kind:     hidden_global_offset_x
      - .offset:         72
        .size:           8
        .value_kind:     hidden_global_offset_y
      - .offset:         80
        .size:           8
        .value_kind:     hidden_global_offset_z
      - .offset:         88
        .size:           2
        .value_kind:     hidden_grid_dims
    .group_segment_fixed_size: 16392
    .kernarg_segment_align: 8
    .kernarg_segment_size: 280
    .language:       OpenCL C
    .language_version:
      - 2
      - 0
    .max_flat_workgroup_size: 1024
    .name:           _ZL13MPCdecompressILi32EEvPlS0_PVi
    .private_segment_fixed_size: 0
    .sgpr_count:     59
    .sgpr_spill_count: 0
    .symbol:         _ZL13MPCdecompressILi32EEvPlS0_PVi.kd
    .uniform_work_group_size: 1
    .uses_dynamic_stack: false
    .vgpr_count:     34
    .vgpr_spill_count: 0
    .wavefront_size: 64
amdhsa.target:   amdgcn-amd-amdhsa--gfx906
amdhsa.version:
  - 1
  - 2
...

	.end_amdgpu_metadata
